;; amdgpu-corpus repo=ROCm/rocFFT kind=compiled arch=gfx906 opt=O3
	.text
	.amdgcn_target "amdgcn-amd-amdhsa--gfx906"
	.amdhsa_code_object_version 6
	.protected	fft_rtc_fwd_len1650_factors_11_2_3_5_5_wgs_110_tpt_110_halfLds_dp_ip_CI_unitstride_sbrr_R2C_dirReg ; -- Begin function fft_rtc_fwd_len1650_factors_11_2_3_5_5_wgs_110_tpt_110_halfLds_dp_ip_CI_unitstride_sbrr_R2C_dirReg
	.globl	fft_rtc_fwd_len1650_factors_11_2_3_5_5_wgs_110_tpt_110_halfLds_dp_ip_CI_unitstride_sbrr_R2C_dirReg
	.p2align	8
	.type	fft_rtc_fwd_len1650_factors_11_2_3_5_5_wgs_110_tpt_110_halfLds_dp_ip_CI_unitstride_sbrr_R2C_dirReg,@function
fft_rtc_fwd_len1650_factors_11_2_3_5_5_wgs_110_tpt_110_halfLds_dp_ip_CI_unitstride_sbrr_R2C_dirReg: ; @fft_rtc_fwd_len1650_factors_11_2_3_5_5_wgs_110_tpt_110_halfLds_dp_ip_CI_unitstride_sbrr_R2C_dirReg
; %bb.0:
	s_load_dwordx2 s[12:13], s[4:5], 0x50
	s_load_dwordx4 s[8:11], s[4:5], 0x0
	s_load_dwordx2 s[2:3], s[4:5], 0x18
	v_mul_u32_u24_e32 v1, 0x254, v0
	v_add_u32_sdwa v5, s6, v1 dst_sel:DWORD dst_unused:UNUSED_PAD src0_sel:DWORD src1_sel:WORD_1
	v_mov_b32_e32 v3, 0
	s_waitcnt lgkmcnt(0)
	v_cmp_lt_u64_e64 s[0:1], s[10:11], 2
	v_mov_b32_e32 v1, 0
	v_mov_b32_e32 v6, v3
	s_and_b64 vcc, exec, s[0:1]
	v_mov_b32_e32 v2, 0
	s_cbranch_vccnz .LBB0_8
; %bb.1:
	s_load_dwordx2 s[0:1], s[4:5], 0x10
	s_add_u32 s6, s2, 8
	s_addc_u32 s7, s3, 0
	v_mov_b32_e32 v1, 0
	v_mov_b32_e32 v2, 0
	s_waitcnt lgkmcnt(0)
	s_add_u32 s14, s0, 8
	s_addc_u32 s15, s1, 0
	s_mov_b64 s[16:17], 1
.LBB0_2:                                ; =>This Inner Loop Header: Depth=1
	s_load_dwordx2 s[18:19], s[14:15], 0x0
                                        ; implicit-def: $vgpr7_vgpr8
	s_waitcnt lgkmcnt(0)
	v_or_b32_e32 v4, s19, v6
	v_cmp_ne_u64_e32 vcc, 0, v[3:4]
	s_and_saveexec_b64 s[0:1], vcc
	s_xor_b64 s[20:21], exec, s[0:1]
	s_cbranch_execz .LBB0_4
; %bb.3:                                ;   in Loop: Header=BB0_2 Depth=1
	v_cvt_f32_u32_e32 v4, s18
	v_cvt_f32_u32_e32 v7, s19
	s_sub_u32 s0, 0, s18
	s_subb_u32 s1, 0, s19
	v_mac_f32_e32 v4, 0x4f800000, v7
	v_rcp_f32_e32 v4, v4
	v_mul_f32_e32 v4, 0x5f7ffffc, v4
	v_mul_f32_e32 v7, 0x2f800000, v4
	v_trunc_f32_e32 v7, v7
	v_mac_f32_e32 v4, 0xcf800000, v7
	v_cvt_u32_f32_e32 v7, v7
	v_cvt_u32_f32_e32 v4, v4
	v_mul_lo_u32 v8, s0, v7
	v_mul_hi_u32 v9, s0, v4
	v_mul_lo_u32 v11, s1, v4
	v_mul_lo_u32 v10, s0, v4
	v_add_u32_e32 v8, v9, v8
	v_add_u32_e32 v8, v8, v11
	v_mul_hi_u32 v9, v4, v10
	v_mul_lo_u32 v11, v4, v8
	v_mul_hi_u32 v13, v4, v8
	v_mul_hi_u32 v12, v7, v10
	v_mul_lo_u32 v10, v7, v10
	v_mul_hi_u32 v14, v7, v8
	v_add_co_u32_e32 v9, vcc, v9, v11
	v_addc_co_u32_e32 v11, vcc, 0, v13, vcc
	v_mul_lo_u32 v8, v7, v8
	v_add_co_u32_e32 v9, vcc, v9, v10
	v_addc_co_u32_e32 v9, vcc, v11, v12, vcc
	v_addc_co_u32_e32 v10, vcc, 0, v14, vcc
	v_add_co_u32_e32 v8, vcc, v9, v8
	v_addc_co_u32_e32 v9, vcc, 0, v10, vcc
	v_add_co_u32_e32 v4, vcc, v4, v8
	v_addc_co_u32_e32 v7, vcc, v7, v9, vcc
	v_mul_lo_u32 v8, s0, v7
	v_mul_hi_u32 v9, s0, v4
	v_mul_lo_u32 v10, s1, v4
	v_mul_lo_u32 v11, s0, v4
	v_add_u32_e32 v8, v9, v8
	v_add_u32_e32 v8, v8, v10
	v_mul_lo_u32 v12, v4, v8
	v_mul_hi_u32 v13, v4, v11
	v_mul_hi_u32 v14, v4, v8
	;; [unrolled: 1-line block ×3, first 2 shown]
	v_mul_lo_u32 v11, v7, v11
	v_mul_hi_u32 v9, v7, v8
	v_add_co_u32_e32 v12, vcc, v13, v12
	v_addc_co_u32_e32 v13, vcc, 0, v14, vcc
	v_mul_lo_u32 v8, v7, v8
	v_add_co_u32_e32 v11, vcc, v12, v11
	v_addc_co_u32_e32 v10, vcc, v13, v10, vcc
	v_addc_co_u32_e32 v9, vcc, 0, v9, vcc
	v_add_co_u32_e32 v8, vcc, v10, v8
	v_addc_co_u32_e32 v9, vcc, 0, v9, vcc
	v_add_co_u32_e32 v4, vcc, v4, v8
	v_addc_co_u32_e32 v9, vcc, v7, v9, vcc
	v_mad_u64_u32 v[7:8], s[0:1], v5, v9, 0
	v_mul_hi_u32 v10, v5, v4
	v_add_co_u32_e32 v11, vcc, v10, v7
	v_addc_co_u32_e32 v12, vcc, 0, v8, vcc
	v_mad_u64_u32 v[7:8], s[0:1], v6, v4, 0
	v_mad_u64_u32 v[9:10], s[0:1], v6, v9, 0
	v_add_co_u32_e32 v4, vcc, v11, v7
	v_addc_co_u32_e32 v4, vcc, v12, v8, vcc
	v_addc_co_u32_e32 v7, vcc, 0, v10, vcc
	v_add_co_u32_e32 v4, vcc, v4, v9
	v_addc_co_u32_e32 v9, vcc, 0, v7, vcc
	v_mul_lo_u32 v10, s19, v4
	v_mul_lo_u32 v11, s18, v9
	v_mad_u64_u32 v[7:8], s[0:1], s18, v4, 0
	v_add3_u32 v8, v8, v11, v10
	v_sub_u32_e32 v10, v6, v8
	v_mov_b32_e32 v11, s19
	v_sub_co_u32_e32 v7, vcc, v5, v7
	v_subb_co_u32_e64 v10, s[0:1], v10, v11, vcc
	v_subrev_co_u32_e64 v11, s[0:1], s18, v7
	v_subbrev_co_u32_e64 v10, s[0:1], 0, v10, s[0:1]
	v_cmp_le_u32_e64 s[0:1], s19, v10
	v_cndmask_b32_e64 v12, 0, -1, s[0:1]
	v_cmp_le_u32_e64 s[0:1], s18, v11
	v_cndmask_b32_e64 v11, 0, -1, s[0:1]
	v_cmp_eq_u32_e64 s[0:1], s19, v10
	v_cndmask_b32_e64 v10, v12, v11, s[0:1]
	v_add_co_u32_e64 v11, s[0:1], 2, v4
	v_addc_co_u32_e64 v12, s[0:1], 0, v9, s[0:1]
	v_add_co_u32_e64 v13, s[0:1], 1, v4
	v_addc_co_u32_e64 v14, s[0:1], 0, v9, s[0:1]
	v_subb_co_u32_e32 v8, vcc, v6, v8, vcc
	v_cmp_ne_u32_e64 s[0:1], 0, v10
	v_cmp_le_u32_e32 vcc, s19, v8
	v_cndmask_b32_e64 v10, v14, v12, s[0:1]
	v_cndmask_b32_e64 v12, 0, -1, vcc
	v_cmp_le_u32_e32 vcc, s18, v7
	v_cndmask_b32_e64 v7, 0, -1, vcc
	v_cmp_eq_u32_e32 vcc, s19, v8
	v_cndmask_b32_e32 v7, v12, v7, vcc
	v_cmp_ne_u32_e32 vcc, 0, v7
	v_cndmask_b32_e64 v7, v13, v11, s[0:1]
	v_cndmask_b32_e32 v8, v9, v10, vcc
	v_cndmask_b32_e32 v7, v4, v7, vcc
.LBB0_4:                                ;   in Loop: Header=BB0_2 Depth=1
	s_andn2_saveexec_b64 s[0:1], s[20:21]
	s_cbranch_execz .LBB0_6
; %bb.5:                                ;   in Loop: Header=BB0_2 Depth=1
	v_cvt_f32_u32_e32 v4, s18
	s_sub_i32 s20, 0, s18
	v_rcp_iflag_f32_e32 v4, v4
	v_mul_f32_e32 v4, 0x4f7ffffe, v4
	v_cvt_u32_f32_e32 v4, v4
	v_mul_lo_u32 v7, s20, v4
	v_mul_hi_u32 v7, v4, v7
	v_add_u32_e32 v4, v4, v7
	v_mul_hi_u32 v4, v5, v4
	v_mul_lo_u32 v7, v4, s18
	v_add_u32_e32 v8, 1, v4
	v_sub_u32_e32 v7, v5, v7
	v_subrev_u32_e32 v9, s18, v7
	v_cmp_le_u32_e32 vcc, s18, v7
	v_cndmask_b32_e32 v7, v7, v9, vcc
	v_cndmask_b32_e32 v4, v4, v8, vcc
	v_add_u32_e32 v8, 1, v4
	v_cmp_le_u32_e32 vcc, s18, v7
	v_cndmask_b32_e32 v7, v4, v8, vcc
	v_mov_b32_e32 v8, v3
.LBB0_6:                                ;   in Loop: Header=BB0_2 Depth=1
	s_or_b64 exec, exec, s[0:1]
	v_mul_lo_u32 v4, v8, s18
	v_mul_lo_u32 v11, v7, s19
	v_mad_u64_u32 v[9:10], s[0:1], v7, s18, 0
	s_load_dwordx2 s[0:1], s[6:7], 0x0
	s_add_u32 s16, s16, 1
	v_add3_u32 v4, v10, v11, v4
	v_sub_co_u32_e32 v5, vcc, v5, v9
	v_subb_co_u32_e32 v4, vcc, v6, v4, vcc
	s_waitcnt lgkmcnt(0)
	v_mul_lo_u32 v4, s0, v4
	v_mul_lo_u32 v6, s1, v5
	v_mad_u64_u32 v[1:2], s[0:1], s0, v5, v[1:2]
	s_addc_u32 s17, s17, 0
	s_add_u32 s6, s6, 8
	v_add3_u32 v2, v6, v2, v4
	v_mov_b32_e32 v4, s10
	v_mov_b32_e32 v5, s11
	s_addc_u32 s7, s7, 0
	v_cmp_ge_u64_e32 vcc, s[16:17], v[4:5]
	s_add_u32 s14, s14, 8
	s_addc_u32 s15, s15, 0
	s_cbranch_vccnz .LBB0_9
; %bb.7:                                ;   in Loop: Header=BB0_2 Depth=1
	v_mov_b32_e32 v5, v7
	v_mov_b32_e32 v6, v8
	s_branch .LBB0_2
.LBB0_8:
	v_mov_b32_e32 v8, v6
	v_mov_b32_e32 v7, v5
.LBB0_9:
	s_lshl_b64 s[0:1], s[10:11], 3
	s_add_u32 s0, s2, s0
	s_addc_u32 s1, s3, s1
	s_load_dwordx2 s[2:3], s[0:1], 0x0
	s_load_dwordx2 s[6:7], s[4:5], 0x20
                                        ; implicit-def: $vgpr68
	s_waitcnt lgkmcnt(0)
	v_mad_u64_u32 v[1:2], s[0:1], s2, v7, v[1:2]
	s_mov_b32 s0, 0x253c826
	v_mul_lo_u32 v3, s2, v8
	v_mul_lo_u32 v4, s3, v7
	v_mul_hi_u32 v5, v0, s0
	v_cmp_gt_u64_e64 s[0:1], s[6:7], v[7:8]
	v_cmp_le_u64_e32 vcc, s[6:7], v[7:8]
	v_add3_u32 v2, v4, v2, v3
	v_mul_u32_u24_e32 v3, 0x6e, v5
	v_sub_u32_e32 v64, v0, v3
	s_and_saveexec_b64 s[2:3], vcc
	s_xor_b64 s[2:3], exec, s[2:3]
; %bb.10:
	v_add_u32_e32 v68, 0x6e, v64
; %bb.11:
	s_or_saveexec_b64 s[2:3], s[2:3]
	v_lshlrev_b64 v[66:67], 4, v[1:2]
	v_lshl_add_u32 v137, v64, 4, 0
	s_xor_b64 exec, exec, s[2:3]
	s_cbranch_execz .LBB0_13
; %bb.12:
	v_mov_b32_e32 v65, 0
	v_mov_b32_e32 v0, s13
	v_add_co_u32_e32 v2, vcc, s12, v66
	v_addc_co_u32_e32 v3, vcc, v0, v67, vcc
	v_lshlrev_b64 v[0:1], 4, v[64:65]
	s_movk_i32 s4, 0x1000
	v_add_co_u32_e32 v48, vcc, v2, v0
	v_addc_co_u32_e32 v49, vcc, v3, v1, vcc
	v_add_co_u32_e32 v24, vcc, s4, v48
	v_addc_co_u32_e32 v25, vcc, 0, v49, vcc
	s_movk_i32 s4, 0x2000
	v_add_co_u32_e32 v40, vcc, s4, v48
	v_addc_co_u32_e32 v41, vcc, 0, v49, vcc
	s_movk_i32 s4, 0x3000
	;; [unrolled: 3-line block ×3, first 2 shown]
	v_add_co_u32_e32 v50, vcc, s4, v48
	v_addc_co_u32_e32 v51, vcc, 0, v49, vcc
	v_add_co_u32_e32 v60, vcc, 0x5000, v48
	v_addc_co_u32_e32 v61, vcc, 0, v49, vcc
	v_add_co_u32_e32 v62, vcc, 0x6000, v48
	global_load_dwordx4 v[0:3], v[48:49], off
	global_load_dwordx4 v[4:7], v[48:49], off offset:1760
	global_load_dwordx4 v[8:11], v[48:49], off offset:3520
	global_load_dwordx4 v[12:15], v[24:25], off offset:1184
	global_load_dwordx4 v[16:19], v[24:25], off offset:2944
	global_load_dwordx4 v[20:23], v[40:41], off offset:608
	s_nop 0
	global_load_dwordx4 v[24:27], v[40:41], off offset:2368
	global_load_dwordx4 v[28:31], v[42:43], off offset:32
	;; [unrolled: 1-line block ×4, first 2 shown]
	s_nop 0
	global_load_dwordx4 v[40:43], v[50:51], off offset:1216
	global_load_dwordx4 v[44:47], v[50:51], off offset:2976
	v_addc_co_u32_e32 v63, vcc, 0, v49, vcc
	global_load_dwordx4 v[48:51], v[60:61], off offset:640
	global_load_dwordx4 v[52:55], v[60:61], off offset:2400
	;; [unrolled: 1-line block ×3, first 2 shown]
	v_add_u32_e32 v68, 0x6e, v64
	s_waitcnt vmcnt(14)
	ds_write_b128 v137, v[0:3]
	s_waitcnt vmcnt(13)
	ds_write_b128 v137, v[4:7] offset:1760
	s_waitcnt vmcnt(12)
	ds_write_b128 v137, v[8:11] offset:3520
	;; [unrolled: 2-line block ×14, first 2 shown]
.LBB0_13:
	s_or_b64 exec, exec, s[2:3]
	s_waitcnt lgkmcnt(0)
	s_barrier
	ds_read_b128 v[28:31], v137 offset:2400
	ds_read_b128 v[20:23], v137
	ds_read_b128 v[0:3], v137 offset:1760
	ds_read_b128 v[4:7], v137 offset:4160
	;; [unrolled: 1-line block ×6, first 2 shown]
	s_waitcnt lgkmcnt(6)
	v_add_f64 v[12:13], v[20:21], v[28:29]
	v_add_f64 v[14:15], v[22:23], v[30:31]
	ds_read_b128 v[40:43], v137 offset:9600
	ds_read_b128 v[36:39], v137 offset:12000
	;; [unrolled: 1-line block ×5, first 2 shown]
	s_mov_b32 s10, 0x8eee2c13
	s_waitcnt lgkmcnt(8)
	v_add_f64 v[16:17], v[12:13], v[52:53]
	v_add_f64 v[18:19], v[14:15], v[54:55]
	ds_read_b128 v[12:15], v137 offset:8960
	s_mov_b32 s11, 0xbfed1bb4
	s_waitcnt lgkmcnt(8)
	v_add_f64 v[103:104], v[52:53], v[56:57]
	v_add_f64 v[52:53], v[52:53], -v[56:57]
	s_mov_b32 s4, 0xf8bb580b
	s_mov_b32 s6, 0xd9c712b6
	s_waitcnt lgkmcnt(6)
	v_add_f64 v[24:25], v[16:17], v[44:45]
	v_add_f64 v[26:27], v[18:19], v[46:47]
	ds_read_b128 v[16:19], v137 offset:11360
	s_mov_b32 s16, 0x43842ef
	s_mov_b32 s18, 0xbb3a28a1
	s_mov_b32 s20, 0xfd768dbf
	s_mov_b32 s5, 0xbfe14ced
	s_mov_b32 s7, 0x3fda9628
	s_waitcnt lgkmcnt(6)
	v_add_f64 v[32:33], v[24:25], v[40:41]
	v_add_f64 v[34:35], v[26:27], v[42:43]
	ds_read_b128 v[24:27], v137 offset:13760
	s_mov_b32 s17, 0xbfefac9e
	s_mov_b32 s19, 0xbfe82f19
	;; [unrolled: 1-line block ×3, first 2 shown]
	v_add_f64 v[105:106], v[54:55], v[58:59]
	v_add_f64 v[54:55], v[54:55], -v[58:59]
	s_waitcnt lgkmcnt(6)
	v_add_f64 v[69:70], v[32:33], v[36:37]
	v_add_f64 v[71:72], v[34:35], v[38:39]
	ds_read_b128 v[32:35], v137 offset:16160
	s_waitcnt lgkmcnt(6)
	v_add_f64 v[77:78], v[36:37], v[48:49]
	v_add_f64 v[79:80], v[38:39], v[50:51]
	v_add_f64 v[81:82], v[36:37], -v[48:49]
	v_add_f64 v[83:84], v[38:39], -v[50:51]
	ds_read_b128 v[36:39], v137 offset:18560
	v_add_f64 v[48:49], v[69:70], v[48:49]
	v_add_f64 v[50:51], v[71:72], v[50:51]
	s_waitcnt lgkmcnt(6)
	v_add_f64 v[85:86], v[40:41], v[60:61]
	v_add_f64 v[87:88], v[42:43], v[62:63]
	v_add_f64 v[89:90], v[40:41], -v[60:61]
	v_add_f64 v[91:92], v[42:43], -v[62:63]
	ds_read_b128 v[69:72], v137 offset:19200
	ds_read_b128 v[40:43], v137 offset:20960
	v_add_f64 v[60:61], v[48:49], v[60:61]
	v_add_f64 v[62:63], v[50:51], v[62:63]
	ds_read_b128 v[48:51], v137 offset:23360
	s_waitcnt lgkmcnt(8)
	v_add_f64 v[101:102], v[30:31], -v[75:76]
	s_waitcnt lgkmcnt(2)
	v_add_f64 v[93:94], v[44:45], v[69:70]
	v_add_f64 v[97:98], v[44:45], -v[69:70]
	v_add_f64 v[107:108], v[30:31], v[75:76]
	v_add_f64 v[109:110], v[28:29], -v[73:74]
	v_add_f64 v[60:61], v[60:61], v[69:70]
	v_add_f64 v[62:63], v[62:63], v[71:72]
	;; [unrolled: 1-line block ×3, first 2 shown]
	v_mul_f64 v[30:31], v[101:102], s[10:11]
	v_add_f64 v[95:96], v[46:47], v[71:72]
	v_add_f64 v[99:100], v[46:47], -v[71:72]
	v_mul_f64 v[71:72], v[101:102], s[4:5]
	s_mov_b32 s2, 0x8764f0ba
	v_add_f64 v[28:29], v[60:61], v[56:57]
	v_add_f64 v[56:57], v[62:63], v[58:59]
	v_mul_f64 v[58:59], v[101:102], s[16:17]
	v_mul_f64 v[60:61], v[101:102], s[18:19]
	v_fma_f64 v[111:112], v[69:70], s[6:7], -v[30:31]
	v_fma_f64 v[113:114], v[69:70], s[6:7], v[30:31]
	s_mov_b32 s14, 0x640f44db
	s_mov_b32 s24, 0x7f775887
	;; [unrolled: 1-line block ×3, first 2 shown]
	v_add_f64 v[30:31], v[56:57], v[75:76]
	v_mul_f64 v[56:57], v[101:102], s[20:21]
	v_mul_f64 v[101:102], v[109:110], s[4:5]
	s_mov_b32 s3, 0x3feaeb8c
	s_mov_b32 s15, 0xbfc2375f
	;; [unrolled: 1-line block ×4, first 2 shown]
	v_fma_f64 v[62:63], v[69:70], s[2:3], -v[71:72]
	v_fma_f64 v[71:72], v[69:70], s[2:3], v[71:72]
	v_add_f64 v[28:29], v[28:29], v[73:74]
	v_fma_f64 v[73:74], v[69:70], s[14:15], -v[58:59]
	v_fma_f64 v[58:59], v[69:70], s[14:15], v[58:59]
	v_fma_f64 v[75:76], v[69:70], s[24:25], -v[60:61]
	v_fma_f64 v[60:61], v[69:70], s[24:25], v[60:61]
	v_mul_f64 v[115:116], v[109:110], s[10:11]
	v_fma_f64 v[117:118], v[69:70], s[22:23], -v[56:57]
	v_mul_f64 v[119:120], v[109:110], s[16:17]
	v_fma_f64 v[56:57], v[69:70], s[22:23], v[56:57]
	v_mul_f64 v[69:70], v[109:110], s[18:19]
	v_mul_f64 v[109:110], v[109:110], s[20:21]
	v_fma_f64 v[121:122], v[107:108], s[2:3], v[101:102]
	v_fma_f64 v[101:102], v[107:108], s[2:3], -v[101:102]
	v_fma_f64 v[123:124], v[107:108], s[6:7], v[115:116]
	v_fma_f64 v[115:116], v[107:108], s[6:7], -v[115:116]
	;; [unrolled: 2-line block ×5, first 2 shown]
	v_add_f64 v[109:110], v[22:23], v[121:122]
	v_mul_f64 v[121:122], v[54:55], s[10:11]
	v_mul_f64 v[131:132], v[52:53], s[10:11]
	v_add_f64 v[62:63], v[20:21], v[62:63]
	v_mul_f64 v[135:136], v[99:100], s[16:17]
	v_mul_f64 v[140:141], v[97:98], s[16:17]
	;; [unrolled: 1-line block ×4, first 2 shown]
	v_add_f64 v[71:72], v[20:21], v[71:72]
	v_fma_f64 v[133:134], v[103:104], s[6:7], -v[121:122]
	v_fma_f64 v[138:139], v[105:106], s[6:7], v[131:132]
	v_add_f64 v[101:102], v[22:23], v[101:102]
	v_fma_f64 v[121:122], v[103:104], s[6:7], v[121:122]
	v_fma_f64 v[131:132], v[105:106], s[6:7], -v[131:132]
	v_mul_f64 v[148:149], v[54:55], s[18:19]
	v_mul_f64 v[150:151], v[52:53], s[18:19]
	s_mov_b32 s27, 0x3fd207e7
	v_add_f64 v[62:63], v[133:134], v[62:63]
	v_fma_f64 v[133:134], v[93:94], s[14:15], -v[135:136]
	v_add_f64 v[109:110], v[138:139], v[109:110]
	v_fma_f64 v[138:139], v[95:96], s[14:15], v[140:141]
	s_mov_b32 s26, s20
	v_add_f64 v[111:112], v[20:21], v[111:112]
	v_add_f64 v[123:124], v[22:23], v[123:124]
	v_add_f64 v[113:114], v[20:21], v[113:114]
	v_add_f64 v[115:116], v[22:23], v[115:116]
	v_add_f64 v[62:63], v[133:134], v[62:63]
	v_fma_f64 v[133:134], v[85:86], s[24:25], -v[142:143]
	v_add_f64 v[109:110], v[138:139], v[109:110]
	v_fma_f64 v[138:139], v[87:88], s[24:25], v[144:145]
	v_add_f64 v[73:74], v[20:21], v[73:74]
	v_add_f64 v[125:126], v[22:23], v[125:126]
	;; [unrolled: 1-line block ×12, first 2 shown]
	v_mul_f64 v[62:63], v[81:82], s[20:21]
	v_add_f64 v[107:108], v[22:23], v[107:108]
	v_add_f64 v[22:23], v[138:139], v[109:110]
	;; [unrolled: 1-line block ×4, first 2 shown]
	v_fma_f64 v[121:122], v[93:94], s[14:15], v[135:136]
	v_fma_f64 v[131:132], v[95:96], s[14:15], -v[140:141]
	v_fma_f64 v[135:136], v[103:104], s[24:25], -v[148:149]
	v_fma_f64 v[138:139], v[105:106], s[24:25], v[150:151]
	v_mul_f64 v[140:141], v[99:100], s[26:27]
	v_mul_f64 v[152:153], v[97:98], s[26:27]
	s_mov_b32 s29, 0x3fefac9e
	s_mov_b32 s28, s16
	v_mul_f64 v[146:147], v[83:84], s[20:21]
	v_fma_f64 v[109:110], v[79:80], s[22:23], v[62:63]
	v_add_f64 v[71:72], v[121:122], v[71:72]
	v_add_f64 v[101:102], v[131:132], v[101:102]
	v_fma_f64 v[121:122], v[85:86], s[24:25], v[142:143]
	v_fma_f64 v[131:132], v[87:88], s[24:25], -v[144:145]
	v_add_f64 v[111:112], v[135:136], v[111:112]
	v_add_f64 v[123:124], v[138:139], v[123:124]
	v_fma_f64 v[135:136], v[93:94], s[22:23], -v[140:141]
	v_fma_f64 v[138:139], v[95:96], s[22:23], v[152:153]
	v_mul_f64 v[142:143], v[91:92], s[28:29]
	v_mul_f64 v[144:145], v[89:90], s[28:29]
	v_fma_f64 v[133:134], v[77:78], s[22:23], -v[146:147]
	v_add_f64 v[22:23], v[109:110], v[22:23]
	v_add_f64 v[71:72], v[121:122], v[71:72]
	v_add_f64 v[101:102], v[131:132], v[101:102]
	v_add_f64 v[109:110], v[135:136], v[111:112]
	v_add_f64 v[111:112], v[138:139], v[123:124]
	v_fma_f64 v[121:122], v[85:86], s[14:15], -v[142:143]
	v_fma_f64 v[123:124], v[87:88], s[14:15], v[144:145]
	v_fma_f64 v[131:132], v[103:104], s[24:25], v[148:149]
	v_fma_f64 v[135:136], v[105:106], s[24:25], -v[150:151]
	v_fma_f64 v[138:139], v[77:78], s[22:23], v[146:147]
	s_mov_b32 s31, 0x3fe14ced
	s_mov_b32 s30, s4
	v_add_f64 v[20:21], v[133:134], v[20:21]
	v_mul_f64 v[133:134], v[83:84], s[30:31]
	v_mul_f64 v[148:149], v[81:82], s[30:31]
	v_fma_f64 v[62:63], v[79:80], s[22:23], -v[62:63]
	v_add_f64 v[109:110], v[121:122], v[109:110]
	v_add_f64 v[111:112], v[123:124], v[111:112]
	;; [unrolled: 1-line block ×3, first 2 shown]
	v_fma_f64 v[121:122], v[93:94], s[22:23], v[140:141]
	v_add_f64 v[115:116], v[135:136], v[115:116]
	v_fma_f64 v[123:124], v[95:96], s[22:23], -v[152:153]
	v_mul_f64 v[146:147], v[54:55], s[26:27]
	v_add_f64 v[138:139], v[138:139], v[71:72]
	v_mul_f64 v[71:72], v[52:53], s[26:27]
	s_mov_b32 s35, 0x3fed1bb4
	s_mov_b32 s34, s10
	v_fma_f64 v[131:132], v[77:78], s[2:3], -v[133:134]
	v_fma_f64 v[135:136], v[79:80], s[2:3], v[148:149]
	v_add_f64 v[140:141], v[62:63], v[101:102]
	v_add_f64 v[62:63], v[121:122], v[113:114]
	;; [unrolled: 1-line block ×3, first 2 shown]
	v_fma_f64 v[113:114], v[85:86], s[14:15], v[142:143]
	v_fma_f64 v[115:116], v[87:88], s[14:15], -v[144:145]
	v_fma_f64 v[121:122], v[103:104], s[22:23], -v[146:147]
	v_mul_f64 v[123:124], v[99:100], s[34:35]
	v_fma_f64 v[150:151], v[105:106], s[22:23], v[71:72]
	v_mul_f64 v[152:153], v[97:98], s[34:35]
	v_add_f64 v[142:143], v[131:132], v[109:110]
	v_add_f64 v[144:145], v[135:136], v[111:112]
	;; [unrolled: 1-line block ×5, first 2 shown]
	v_fma_f64 v[109:110], v[93:94], s[6:7], -v[123:124]
	v_add_f64 v[111:112], v[150:151], v[125:126]
	v_fma_f64 v[113:114], v[95:96], s[6:7], v[152:153]
	v_mul_f64 v[115:116], v[91:92], s[4:5]
	v_mul_f64 v[121:122], v[89:90], s[4:5]
	v_fma_f64 v[125:126], v[77:78], s[2:3], v[133:134]
	v_fma_f64 v[131:132], v[103:104], s[22:23], v[146:147]
	v_fma_f64 v[71:72], v[105:106], s[22:23], -v[71:72]
	v_fma_f64 v[133:134], v[79:80], s[2:3], -v[148:149]
	v_add_f64 v[73:74], v[109:110], v[73:74]
	v_add_f64 v[109:110], v[113:114], v[111:112]
	v_fma_f64 v[111:112], v[85:86], s[2:3], -v[115:116]
	v_fma_f64 v[113:114], v[87:88], s[2:3], v[121:122]
	v_mul_f64 v[135:136], v[83:84], s[18:19]
	v_add_f64 v[58:59], v[131:132], v[58:59]
	v_mul_f64 v[131:132], v[81:82], s[18:19]
	v_fma_f64 v[123:124], v[93:94], s[6:7], v[123:124]
	v_add_f64 v[146:147], v[125:126], v[62:63]
	v_add_f64 v[62:63], v[71:72], v[119:120]
	v_fma_f64 v[71:72], v[95:96], s[6:7], -v[152:153]
	v_add_f64 v[73:74], v[111:112], v[73:74]
	v_add_f64 v[109:110], v[113:114], v[109:110]
	v_fma_f64 v[111:112], v[77:78], s[24:25], -v[135:136]
	v_fma_f64 v[113:114], v[79:80], s[24:25], v[131:132]
	v_add_f64 v[58:59], v[123:124], v[58:59]
	v_fma_f64 v[115:116], v[85:86], s[2:3], v[115:116]
	v_add_f64 v[148:149], v[133:134], v[101:102]
	v_mul_f64 v[101:102], v[54:55], s[28:29]
	v_mul_f64 v[119:120], v[52:53], s[28:29]
	v_add_f64 v[62:63], v[71:72], v[62:63]
	v_fma_f64 v[71:72], v[87:88], s[2:3], -v[121:122]
	v_add_f64 v[150:151], v[111:112], v[73:74]
	v_add_f64 v[152:153], v[113:114], v[109:110]
	;; [unrolled: 1-line block ×3, first 2 shown]
	v_mul_f64 v[113:114], v[99:100], s[4:5]
	v_fma_f64 v[109:110], v[103:104], s[14:15], -v[101:102]
	v_fma_f64 v[111:112], v[105:106], s[14:15], v[119:120]
	v_mul_f64 v[115:116], v[97:98], s[4:5]
	v_add_f64 v[62:63], v[71:72], v[62:63]
	v_fma_f64 v[71:72], v[103:104], s[14:15], v[101:102]
	v_fma_f64 v[73:74], v[77:78], s[24:25], v[135:136]
	v_fma_f64 v[119:120], v[105:106], s[14:15], -v[119:120]
	v_mul_f64 v[123:124], v[91:92], s[20:21]
	v_add_f64 v[75:76], v[109:110], v[75:76]
	v_add_f64 v[109:110], v[111:112], v[127:128]
	v_fma_f64 v[111:112], v[93:94], s[2:3], -v[113:114]
	v_fma_f64 v[121:122], v[95:96], s[2:3], v[115:116]
	v_add_f64 v[60:61], v[71:72], v[60:61]
	v_mul_f64 v[71:72], v[89:90], s[20:21]
	v_fma_f64 v[101:102], v[79:80], s[24:25], -v[131:132]
	v_add_f64 v[154:155], v[73:74], v[58:59]
	v_add_f64 v[58:59], v[119:120], v[69:70]
	v_fma_f64 v[69:70], v[95:96], s[2:3], -v[115:116]
	v_add_f64 v[73:74], v[111:112], v[75:76]
	v_add_f64 v[75:76], v[121:122], v[109:110]
	v_fma_f64 v[109:110], v[85:86], s[22:23], -v[123:124]
	v_fma_f64 v[111:112], v[87:88], s[22:23], v[71:72]
	v_mul_f64 v[54:55], v[54:55], s[30:31]
	v_mul_f64 v[52:53], v[52:53], s[30:31]
	v_add_f64 v[156:157], v[101:102], v[62:63]
	v_add_f64 v[58:59], v[69:70], v[58:59]
	v_fma_f64 v[62:63], v[87:88], s[22:23], -v[71:72]
	v_mul_f64 v[99:100], v[99:100], s[18:19]
	v_add_f64 v[69:70], v[109:110], v[73:74]
	v_add_f64 v[71:72], v[111:112], v[75:76]
	v_fma_f64 v[73:74], v[103:104], s[2:3], -v[54:55]
	v_fma_f64 v[75:76], v[105:106], s[2:3], v[52:53]
	v_fma_f64 v[54:55], v[103:104], s[2:3], v[54:55]
	v_mul_f64 v[97:98], v[97:98], s[18:19]
	v_fma_f64 v[52:53], v[105:106], s[2:3], -v[52:53]
	v_fma_f64 v[113:114], v[93:94], s[2:3], v[113:114]
	v_add_f64 v[58:59], v[62:63], v[58:59]
	v_fma_f64 v[101:102], v[93:94], s[24:25], -v[99:100]
	v_add_f64 v[62:63], v[73:74], v[117:118]
	v_add_f64 v[73:74], v[75:76], v[129:130]
	;; [unrolled: 1-line block ×3, first 2 shown]
	v_fma_f64 v[56:57], v[95:96], s[24:25], v[97:98]
	v_add_f64 v[52:53], v[52:53], v[107:108]
	v_fma_f64 v[93:94], v[93:94], s[24:25], v[99:100]
	v_mul_f64 v[91:92], v[91:92], s[34:35]
	v_fma_f64 v[95:96], v[95:96], s[24:25], -v[97:98]
	v_mul_f64 v[89:90], v[89:90], s[34:35]
	v_add_f64 v[60:61], v[113:114], v[60:61]
	v_fma_f64 v[113:114], v[85:86], s[22:23], v[123:124]
	v_mul_f64 v[75:76], v[83:84], s[34:35]
	v_add_f64 v[62:63], v[101:102], v[62:63]
	v_add_f64 v[56:57], v[56:57], v[73:74]
	v_mul_f64 v[73:74], v[81:82], s[34:35]
	v_add_f64 v[54:55], v[93:94], v[54:55]
	v_fma_f64 v[93:94], v[85:86], s[6:7], -v[91:92]
	v_add_f64 v[52:53], v[95:96], v[52:53]
	v_fma_f64 v[95:96], v[87:88], s[6:7], v[89:90]
	v_mul_f64 v[83:84], v[83:84], s[16:17]
	v_mul_f64 v[81:82], v[81:82], s[16:17]
	v_fma_f64 v[85:86], v[85:86], s[6:7], v[91:92]
	v_fma_f64 v[87:88], v[87:88], s[6:7], -v[89:90]
	ds_read_b128 v[44:47], v137 offset:25760
	v_add_f64 v[60:61], v[113:114], v[60:61]
	v_fma_f64 v[97:98], v[77:78], s[6:7], -v[75:76]
	v_fma_f64 v[75:76], v[77:78], s[6:7], v[75:76]
	v_add_f64 v[62:63], v[93:94], v[62:63]
	v_add_f64 v[56:57], v[95:96], v[56:57]
	v_fma_f64 v[89:90], v[77:78], s[14:15], -v[83:84]
	v_fma_f64 v[93:94], v[79:80], s[14:15], v[81:82]
	v_add_f64 v[54:55], v[85:86], v[54:55]
	v_add_f64 v[85:86], v[87:88], v[52:53]
	v_fma_f64 v[77:78], v[77:78], s[14:15], v[83:84]
	s_waitcnt lgkmcnt(0)
	v_add_f64 v[52:53], v[6:7], -v[46:47]
	v_add_f64 v[87:88], v[6:7], v[46:47]
	v_fma_f64 v[91:92], v[79:80], s[6:7], v[73:74]
	v_fma_f64 v[73:74], v[79:80], s[6:7], -v[73:74]
	v_fma_f64 v[79:80], v[79:80], s[14:15], -v[81:82]
	v_add_f64 v[158:159], v[97:98], v[69:70]
	v_add_f64 v[162:163], v[75:76], v[60:61]
	;; [unrolled: 1-line block ×5, first 2 shown]
	v_mul_f64 v[97:98], v[52:53], s[16:17]
	v_add_f64 v[56:57], v[10:11], -v[50:51]
	v_add_f64 v[60:61], v[4:5], -v[44:45]
	v_mul_f64 v[105:106], v[87:88], s[14:15]
	v_add_f64 v[75:76], v[10:11], v[50:51]
	v_mul_f64 v[117:118], v[52:53], s[18:19]
	v_mul_f64 v[133:134], v[87:88], s[24:25]
	v_add_f64 v[160:161], v[91:92], v[71:72]
	v_add_f64 v[164:165], v[73:74], v[58:59]
	;; [unrolled: 1-line block ×4, first 2 shown]
	v_fma_f64 v[69:70], v[54:55], s[14:15], -v[97:98]
	v_add_f64 v[58:59], v[8:9], v[48:49]
	v_mul_f64 v[101:102], v[56:57], s[26:27]
	v_fma_f64 v[73:74], v[60:61], s[16:17], v[105:106]
	v_add_f64 v[62:63], v[8:9], -v[48:49]
	v_mul_f64 v[107:108], v[75:76], s[22:23]
	v_add_f64 v[71:72], v[14:15], -v[42:43]
	v_add_f64 v[79:80], v[14:15], v[42:43]
	v_fma_f64 v[111:112], v[54:55], s[24:25], -v[117:118]
	v_mul_f64 v[119:120], v[56:57], s[28:29]
	v_fma_f64 v[115:116], v[60:61], s[18:19], v[133:134]
	v_mul_f64 v[127:128], v[75:76], s[14:15]
	s_movk_i32 s33, 0xa0
	v_mad_u32_u24 v65, v64, s33, v137
	s_barrier
	ds_write_b128 v65, v[28:31]
	v_add_f64 v[28:29], v[0:1], v[69:70]
	v_fma_f64 v[30:31], v[58:59], s[22:23], -v[101:102]
	v_add_f64 v[83:84], v[2:3], v[73:74]
	v_fma_f64 v[85:86], v[62:63], s[26:27], v[107:108]
	v_add_f64 v[69:70], v[12:13], v[40:41]
	v_mul_f64 v[99:100], v[71:72], s[34:35]
	v_add_f64 v[73:74], v[12:13], -v[40:41]
	v_mul_f64 v[103:104], v[79:80], s[6:7]
	v_add_f64 v[77:78], v[18:19], -v[38:39]
	v_add_f64 v[81:82], v[18:19], v[38:39]
	v_add_f64 v[111:112], v[0:1], v[111:112]
	v_fma_f64 v[121:122], v[58:59], s[14:15], -v[119:120]
	v_add_f64 v[115:116], v[2:3], v[115:116]
	v_fma_f64 v[125:126], v[62:63], s[28:29], v[127:128]
	v_mul_f64 v[123:124], v[71:72], s[4:5]
	v_mul_f64 v[129:130], v[79:80], s[2:3]
	v_add_f64 v[28:29], v[30:31], v[28:29]
	v_add_f64 v[30:31], v[85:86], v[83:84]
	v_fma_f64 v[89:90], v[69:70], s[6:7], -v[99:100]
	v_fma_f64 v[91:92], v[73:74], s[34:35], v[103:104]
	v_add_f64 v[83:84], v[16:17], v[36:37]
	v_mul_f64 v[109:110], v[77:78], s[4:5]
	v_add_f64 v[85:86], v[16:17], -v[36:37]
	v_mul_f64 v[113:114], v[81:82], s[2:3]
	v_add_f64 v[93:94], v[26:27], -v[34:35]
	v_add_f64 v[95:96], v[26:27], v[34:35]
	v_add_f64 v[131:132], v[121:122], v[111:112]
	;; [unrolled: 1-line block ×3, first 2 shown]
	v_fma_f64 v[178:179], v[69:70], s[2:3], -v[123:124]
	v_fma_f64 v[180:181], v[73:74], s[4:5], v[129:130]
	v_mul_f64 v[121:122], v[77:78], s[20:21]
	v_mul_f64 v[135:136], v[81:82], s[22:23]
	v_add_f64 v[28:29], v[89:90], v[28:29]
	v_add_f64 v[30:31], v[91:92], v[30:31]
	v_fma_f64 v[174:175], v[83:84], s[2:3], -v[109:110]
	v_fma_f64 v[176:177], v[85:86], s[4:5], v[113:114]
	v_add_f64 v[89:90], v[24:25], v[32:33]
	v_mul_f64 v[111:112], v[93:94], s[18:19]
	v_add_f64 v[91:92], v[24:25], -v[32:33]
	v_mul_f64 v[115:116], v[95:96], s[24:25]
	v_add_f64 v[178:179], v[178:179], v[131:132]
	v_add_f64 v[180:181], v[180:181], v[125:126]
	v_fma_f64 v[182:183], v[83:84], s[22:23], -v[121:122]
	v_fma_f64 v[184:185], v[85:86], s[20:21], v[135:136]
	v_mul_f64 v[125:126], v[93:94], s[34:35]
	v_mul_f64 v[131:132], v[95:96], s[6:7]
	v_add_f64 v[28:29], v[174:175], v[28:29]
	v_add_f64 v[30:31], v[176:177], v[30:31]
	v_fma_f64 v[174:175], v[89:90], s[24:25], -v[111:112]
	v_fma_f64 v[176:177], v[91:92], s[18:19], v[115:116]
	v_add_f64 v[178:179], v[182:183], v[178:179]
	v_add_f64 v[180:181], v[184:185], v[180:181]
	v_fma_f64 v[182:183], v[89:90], s[6:7], -v[125:126]
	v_fma_f64 v[184:185], v[91:92], s[34:35], v[131:132]
	ds_write_b128 v65, v[20:23] offset:16
	ds_write_b128 v65, v[142:145] offset:32
	;; [unrolled: 1-line block ×4, first 2 shown]
	v_cmp_gt_u32_e32 vcc, 40, v64
	v_add_f64 v[20:21], v[174:175], v[28:29]
	v_add_f64 v[22:23], v[176:177], v[30:31]
	ds_write_b128 v65, v[166:169] offset:80
	ds_write_b128 v65, v[170:173] offset:96
	;; [unrolled: 1-line block ×6, first 2 shown]
	v_add_f64 v[28:29], v[182:183], v[178:179]
	v_add_f64 v[30:31], v[184:185], v[180:181]
	s_and_saveexec_b64 s[36:37], vcc
	s_cbranch_execz .LBB0_15
; %bb.14:
	v_mul_f64 v[156:157], v[52:53], s[20:21]
	v_mul_f64 v[168:169], v[56:57], s[30:31]
	;; [unrolled: 1-line block ×8, first 2 shown]
	v_fma_f64 v[170:171], v[54:55], s[22:23], v[156:157]
	v_fma_f64 v[180:181], v[58:59], s[2:3], v[168:169]
	;; [unrolled: 1-line block ×4, first 2 shown]
	v_mul_f64 v[158:159], v[62:63], s[28:29]
	v_fma_f64 v[174:175], v[62:63], s[4:5], v[160:161]
	v_mul_f64 v[194:195], v[93:94], s[16:17]
	v_fma_f64 v[196:197], v[83:84], s[6:7], v[186:187]
	v_add_f64 v[170:171], v[0:1], v[170:171]
	v_fma_f64 v[138:139], v[60:61], s[20:21], v[138:139]
	v_add_f64 v[140:141], v[2:3], v[140:141]
	v_fma_f64 v[156:157], v[54:55], s[22:23], -v[156:157]
	v_add_f64 v[133:134], v[133:134], -v[148:149]
	v_mul_f64 v[154:155], v[58:59], s[14:15]
	v_mul_f64 v[172:173], v[79:80], s[24:25]
	v_fma_f64 v[202:203], v[89:90], s[14:15], v[194:195]
	v_add_f64 v[170:171], v[180:181], v[170:171]
	v_fma_f64 v[160:161], v[62:63], s[30:31], v[160:161]
	v_add_f64 v[140:141], v[174:175], v[140:141]
	v_mul_f64 v[174:175], v[73:74], s[4:5]
	v_add_f64 v[148:149], v[2:3], v[138:139]
	v_add_f64 v[117:118], v[146:147], v[117:118]
	v_fma_f64 v[146:147], v[58:59], s[2:3], -v[168:169]
	v_add_f64 v[156:157], v[0:1], v[156:157]
	v_add_f64 v[170:171], v[188:189], v[170:171]
	v_add_f64 v[127:128], v[127:128], -v[158:159]
	v_add_f64 v[133:134], v[2:3], v[133:134]
	v_mul_f64 v[144:145], v[60:61], s[16:17]
	v_mul_f64 v[166:167], v[69:70], s[2:3]
	;; [unrolled: 1-line block ×4, first 2 shown]
	v_add_f64 v[148:149], v[160:161], v[148:149]
	v_add_f64 v[170:171], v[196:197], v[170:171]
	;; [unrolled: 1-line block ×4, first 2 shown]
	v_fma_f64 v[154:155], v[69:70], s[24:25], -v[178:179]
	v_add_f64 v[146:147], v[146:147], v[156:157]
	v_add_f64 v[129:130], v[129:130], -v[174:175]
	v_add_f64 v[127:128], v[127:128], v[133:134]
	v_mul_f64 v[142:143], v[54:55], s[14:15]
	v_add_f64 v[138:139], v[202:203], v[170:171]
	v_fma_f64 v[170:171], v[73:74], s[18:19], v[172:173]
	v_mul_f64 v[152:153], v[62:63], s[26:27]
	v_mul_f64 v[192:193], v[83:84], s[22:23]
	v_fma_f64 v[158:159], v[85:86], s[34:35], v[176:177]
	v_add_f64 v[123:124], v[166:167], v[123:124]
	v_add_f64 v[117:118], v[119:120], v[117:118]
	v_fma_f64 v[119:120], v[83:84], s[6:7], -v[186:187]
	v_add_f64 v[146:147], v[154:155], v[146:147]
	v_add_f64 v[133:134], v[170:171], v[148:149]
	v_add_f64 v[135:136], v[135:136], -v[188:189]
	v_add_f64 v[127:128], v[129:130], v[127:128]
	v_add_f64 v[105:106], v[105:106], -v[144:145]
	s_mov_b32 s39, 0x3fe82f19
	s_mov_b32 s38, s18
	v_mul_f64 v[150:151], v[58:59], s[22:23]
	v_mul_f64 v[164:165], v[73:74], s[34:35]
	v_fma_f64 v[182:183], v[73:74], s[38:39], v[172:173]
	v_mul_f64 v[196:197], v[89:90], s[6:7]
	v_mul_f64 v[204:205], v[91:92], s[34:35]
	v_add_f64 v[129:130], v[158:159], v[133:134]
	v_add_f64 v[121:122], v[192:193], v[121:122]
	;; [unrolled: 1-line block ×3, first 2 shown]
	v_fma_f64 v[123:124], v[89:90], s[14:15], -v[194:195]
	v_add_f64 v[119:120], v[119:120], v[146:147]
	v_add_f64 v[127:128], v[135:136], v[127:128]
	v_add_f64 v[133:134], v[107:108], -v[152:153]
	v_add_f64 v[135:136], v[2:3], v[105:106]
	v_add_f64 v[97:98], v[142:143], v[97:98]
	v_mul_f64 v[162:163], v[69:70], s[6:7]
	v_add_f64 v[140:141], v[182:183], v[140:141]
	v_mul_f64 v[182:183], v[85:86], s[4:5]
	v_add_f64 v[131:132], v[131:132], -v[204:205]
	v_add_f64 v[125:126], v[196:197], v[125:126]
	v_add_f64 v[117:118], v[121:122], v[117:118]
	;; [unrolled: 1-line block ×3, first 2 shown]
	v_mul_f64 v[121:122], v[87:88], s[6:7]
	v_add_f64 v[103:104], v[103:104], -v[164:165]
	v_add_f64 v[123:124], v[133:134], v[135:136]
	v_add_f64 v[101:102], v[150:151], v[101:102]
	;; [unrolled: 1-line block ×5, first 2 shown]
	v_mul_f64 v[184:185], v[83:84], s[2:3]
	v_fma_f64 v[190:191], v[85:86], s[10:11], v[176:177]
	v_add_f64 v[119:120], v[131:132], v[127:128]
	v_add_f64 v[117:118], v[125:126], v[117:118]
	v_add_f64 v[113:114], v[113:114], -v[182:183]
	v_mul_f64 v[125:126], v[75:76], s[24:25]
	v_fma_f64 v[127:128], v[60:61], s[34:35], v[121:122]
	v_add_f64 v[103:104], v[103:104], v[123:124]
	v_mul_f64 v[123:124], v[52:53], s[10:11]
	v_add_f64 v[99:100], v[162:163], v[99:100]
	v_add_f64 v[97:98], v[101:102], v[97:98]
	;; [unrolled: 1-line block ×5, first 2 shown]
	v_mul_f64 v[190:191], v[89:90], s[24:25]
	v_fma_f64 v[131:132], v[62:63], s[38:39], v[125:126]
	v_add_f64 v[127:128], v[2:3], v[127:128]
	v_add_f64 v[101:102], v[113:114], v[103:104]
	v_mul_f64 v[113:114], v[56:57], s[18:19]
	v_fma_f64 v[103:104], v[54:55], s[6:7], v[123:124]
	v_add_f64 v[109:110], v[184:185], v[109:110]
	v_add_f64 v[97:98], v[99:100], v[97:98]
	v_mul_f64 v[180:181], v[95:96], s[14:15]
	v_add_f64 v[6:7], v[6:7], v[14:15]
	v_add_f64 v[8:9], v[8:9], v[12:13]
	v_mul_f64 v[200:201], v[91:92], s[18:19]
	v_add_f64 v[127:128], v[131:132], v[127:128]
	v_mul_f64 v[131:132], v[71:72], s[26:27]
	v_fma_f64 v[99:100], v[58:59], s[24:25], v[113:114]
	v_add_f64 v[103:104], v[0:1], v[103:104]
	v_add_f64 v[111:112], v[190:191], v[111:112]
	v_fma_f64 v[121:122], v[60:61], s[10:11], v[121:122]
	v_add_f64 v[97:98], v[109:110], v[97:98]
	v_fma_f64 v[148:149], v[91:92], s[16:17], v[180:181]
	v_add_f64 v[6:7], v[6:7], v[18:19]
	v_add_f64 v[8:9], v[8:9], v[16:17]
	v_add_f64 v[115:116], v[115:116], -v[200:201]
	v_fma_f64 v[146:147], v[69:70], s[22:23], v[131:132]
	v_add_f64 v[99:100], v[99:100], v[103:104]
	v_fma_f64 v[125:126], v[62:63], s[18:19], v[125:126]
	v_add_f64 v[121:122], v[2:3], v[121:122]
	v_add_f64 v[97:98], v[111:112], v[97:98]
	v_fma_f64 v[111:112], v[54:55], s[6:7], -v[123:124]
	v_mul_f64 v[87:88], v[87:88], s[2:3]
	v_mul_f64 v[16:17], v[52:53], s[4:5]
	v_add_f64 v[107:108], v[148:149], v[129:130]
	v_mul_f64 v[129:130], v[79:80], s[22:23]
	v_add_f64 v[6:7], v[6:7], v[26:27]
	v_add_f64 v[8:9], v[8:9], v[24:25]
	;; [unrolled: 1-line block ×5, first 2 shown]
	v_fma_f64 v[113:114], v[58:59], s[24:25], -v[113:114]
	v_add_f64 v[111:112], v[0:1], v[111:112]
	v_mul_f64 v[75:76], v[75:76], s[6:7]
	v_fma_f64 v[125:126], v[60:61], s[30:31], v[87:88]
	v_fma_f64 v[52:53], v[60:61], s[4:5], v[87:88]
	v_mul_f64 v[56:57], v[56:57], s[10:11]
	v_fma_f64 v[24:25], v[54:55], s[2:3], -v[16:17]
	v_fma_f64 v[16:17], v[54:55], s[2:3], v[16:17]
	v_mul_f64 v[133:134], v[81:82], s[14:15]
	v_fma_f64 v[135:136], v[73:74], s[20:21], v[129:130]
	v_fma_f64 v[101:102], v[73:74], s[26:27], v[129:130]
	v_add_f64 v[6:7], v[6:7], v[34:35]
	v_add_f64 v[8:9], v[8:9], v[32:33]
	;; [unrolled: 1-line block ×3, first 2 shown]
	v_mul_f64 v[79:80], v[79:80], s[14:15]
	v_fma_f64 v[10:11], v[62:63], s[34:35], v[75:76]
	v_add_f64 v[113:114], v[2:3], v[125:126]
	v_mul_f64 v[26:27], v[71:72], s[16:17]
	v_fma_f64 v[54:55], v[62:63], s[10:11], v[75:76]
	v_add_f64 v[2:3], v[2:3], v[52:53]
	v_fma_f64 v[52:53], v[58:59], s[6:7], -v[56:57]
	v_add_f64 v[24:25], v[0:1], v[24:25]
	v_fma_f64 v[32:33], v[58:59], s[6:7], v[56:57]
	v_add_f64 v[0:1], v[0:1], v[16:17]
	v_mul_f64 v[142:143], v[95:96], s[2:3]
	v_add_f64 v[127:128], v[135:136], v[127:128]
	v_mul_f64 v[135:136], v[77:78], s[28:29]
	v_fma_f64 v[123:124], v[85:86], s[28:29], v[133:134]
	v_add_f64 v[101:102], v[101:102], v[115:116]
	v_fma_f64 v[129:130], v[69:70], s[22:23], -v[131:132]
	v_add_f64 v[6:7], v[6:7], v[38:39]
	v_add_f64 v[8:9], v[8:9], v[36:37]
	v_mul_f64 v[81:82], v[81:82], s[24:25]
	v_fma_f64 v[12:13], v[73:74], s[28:29], v[79:80]
	v_add_f64 v[10:11], v[10:11], v[113:114]
	v_mul_f64 v[18:19], v[77:78], s[18:19]
	v_fma_f64 v[16:17], v[73:74], s[16:17], v[79:80]
	v_add_f64 v[2:3], v[54:55], v[2:3]
	v_fma_f64 v[34:35], v[69:70], s[14:15], -v[26:27]
	v_add_f64 v[24:25], v[52:53], v[24:25]
	v_fma_f64 v[144:145], v[85:86], s[16:17], v[133:134]
	v_fma_f64 v[26:27], v[69:70], s[14:15], v[26:27]
	v_add_f64 v[0:1], v[32:33], v[0:1]
	v_fma_f64 v[115:116], v[91:92], s[30:31], v[142:143]
	v_add_f64 v[101:102], v[123:124], v[101:102]
	v_fma_f64 v[123:124], v[83:84], s[14:15], -v[135:136]
	v_add_f64 v[111:112], v[129:130], v[111:112]
	v_add_f64 v[6:7], v[6:7], v[42:43]
	;; [unrolled: 1-line block ×3, first 2 shown]
	v_mul_f64 v[95:96], v[95:96], s[22:23]
	v_add_f64 v[10:11], v[12:13], v[10:11]
	v_mul_f64 v[12:13], v[93:94], s[20:21]
	v_fma_f64 v[32:33], v[85:86], s[18:19], v[81:82]
	v_add_f64 v[2:3], v[16:17], v[2:3]
	v_fma_f64 v[16:17], v[83:84], s[24:25], -v[18:19]
	v_add_f64 v[24:25], v[34:35], v[24:25]
	v_add_f64 v[109:110], v[144:145], v[127:128]
	v_mul_f64 v[127:128], v[93:94], s[30:31]
	v_fma_f64 v[18:19], v[83:84], s[24:25], v[18:19]
	v_add_f64 v[0:1], v[26:27], v[0:1]
	v_fma_f64 v[103:104], v[91:92], s[4:5], v[142:143]
	v_fma_f64 v[144:145], v[83:84], s[14:15], v[135:136]
	v_add_f64 v[4:5], v[115:116], v[101:102]
	v_add_f64 v[101:102], v[123:124], v[111:112]
	v_fma_f64 v[111:112], v[85:86], s[38:39], v[81:82]
	v_add_f64 v[6:7], v[6:7], v[50:51]
	v_add_f64 v[34:35], v[8:9], v[48:49]
	v_fma_f64 v[26:27], v[91:92], s[20:21], v[95:96]
	v_add_f64 v[2:3], v[32:33], v[2:3]
	v_fma_f64 v[32:33], v[89:90], s[22:23], -v[12:13]
	v_add_f64 v[16:17], v[16:17], v[24:25]
	v_fma_f64 v[14:15], v[89:90], s[2:3], -v[127:128]
	v_fma_f64 v[198:199], v[91:92], s[28:29], v[180:181]
	v_fma_f64 v[38:39], v[89:90], s[22:23], v[12:13]
	v_add_f64 v[0:1], v[18:19], v[0:1]
	v_add_f64 v[103:104], v[103:104], v[109:110]
	v_fma_f64 v[109:110], v[89:90], s[2:3], v[127:128]
	v_add_f64 v[121:122], v[144:145], v[146:147]
	v_fma_f64 v[24:25], v[91:92], s[26:27], v[95:96]
	v_add_f64 v[36:37], v[111:112], v[10:11]
	v_add_f64 v[12:13], v[6:7], v[46:47]
	;; [unrolled: 1-line block ×7, first 2 shown]
	s_movk_i32 s2, 0xb0
	v_add_f64 v[14:15], v[38:39], v[0:1]
	v_mad_i32_i24 v0, v68, s2, 0
	v_add_f64 v[101:102], v[109:110], v[121:122]
	v_add_f64 v[16:17], v[24:25], v[36:37]
	ds_write_b128 v0, v[10:13]
	ds_write_b128 v0, v[6:9] offset:16
	ds_write_b128 v0, v[2:5] offset:32
	;; [unrolled: 1-line block ×10, first 2 shown]
.LBB0_15:
	s_or_b64 exec, exec, s[36:37]
	s_waitcnt lgkmcnt(0)
	s_barrier
	v_lshl_add_u32 v70, v68, 4, 0
	ds_read_b128 v[4:7], v137
	ds_read_b128 v[0:3], v70
	ds_read_b128 v[36:39], v137 offset:14960
	ds_read_b128 v[44:47], v137 offset:16720
	;; [unrolled: 1-line block ×12, first 2 shown]
	v_cmp_gt_u32_e32 vcc, 55, v64
	s_and_saveexec_b64 s[2:3], vcc
	s_cbranch_execz .LBB0_17
; %bb.16:
	ds_read_b128 v[20:23], v137 offset:12320
	ds_read_b128 v[28:31], v137 offset:25520
.LBB0_17:
	s_or_b64 exec, exec, s[2:3]
	s_movk_i32 s2, 0x75
	v_mul_lo_u16_sdwa v69, v64, s2 dst_sel:DWORD dst_unused:UNUSED_PAD src0_sel:BYTE_0 src1_sel:DWORD
	v_sub_u16_sdwa v73, v64, v69 dst_sel:DWORD dst_unused:UNUSED_PAD src0_sel:DWORD src1_sel:BYTE_1
	v_lshrrev_b16_e32 v73, 1, v73
	v_and_b32_e32 v73, 0x7f, v73
	v_add_u16_sdwa v69, v73, v69 dst_sel:DWORD dst_unused:UNUSED_PAD src0_sel:DWORD src1_sel:BYTE_1
	v_lshrrev_b16_e32 v104, 3, v69
	v_mul_lo_u16_e32 v69, 11, v104
	v_sub_u16_e32 v73, v64, v69
	v_mov_b32_e32 v69, 4
	v_lshlrev_b32_sdwa v105, v69, v73 dst_sel:DWORD dst_unused:UNUSED_PAD src0_sel:DWORD src1_sel:BYTE_0
	v_mul_lo_u16_sdwa v73, v68, s2 dst_sel:DWORD dst_unused:UNUSED_PAD src0_sel:BYTE_0 src1_sel:DWORD
	v_sub_u16_sdwa v74, v68, v73 dst_sel:DWORD dst_unused:UNUSED_PAD src0_sel:DWORD src1_sel:BYTE_1
	v_add_u32_e32 v65, 0xdc, v64
	v_lshrrev_b16_e32 v74, 1, v74
	s_mov_b32 s4, 0xba2f
	v_and_b32_e32 v74, 0x7f, v74
	v_mul_u32_u24_sdwa v75, v65, s4 dst_sel:DWORD dst_unused:UNUSED_PAD src0_sel:WORD_0 src1_sel:DWORD
	v_add_u32_e32 v72, 0x14a, v64
	v_add_u16_sdwa v73, v74, v73 dst_sel:DWORD dst_unused:UNUSED_PAD src0_sel:DWORD src1_sel:BYTE_1
	v_lshrrev_b32_e32 v118, 19, v75
	v_lshrrev_b16_e32 v106, 3, v73
	v_mul_lo_u16_e32 v73, 11, v118
	v_mul_u32_u24_sdwa v74, v72, s4 dst_sel:DWORD dst_unused:UNUSED_PAD src0_sel:WORD_0 src1_sel:DWORD
	v_sub_u16_e32 v73, v65, v73
	v_lshrrev_b32_e32 v120, 19, v74
	v_lshlrev_b32_e32 v119, 4, v73
	v_mul_lo_u16_e32 v73, 11, v120
	v_add_u32_e32 v71, 0x1b8, v64
	v_sub_u16_e32 v73, v72, v73
	v_lshlrev_b32_e32 v121, 4, v73
	v_mul_u32_u24_sdwa v73, v71, s4 dst_sel:DWORD dst_unused:UNUSED_PAD src0_sel:WORD_0 src1_sel:DWORD
	v_lshrrev_b32_e32 v122, 19, v73
	v_add_u32_e32 v92, 0x294, v64
	v_mul_lo_u16_e32 v85, 11, v122
	v_add_u32_e32 v84, 0x226, v64
	v_sub_u16_e32 v85, v71, v85
	v_mul_u32_u24_sdwa v93, v92, s4 dst_sel:DWORD dst_unused:UNUSED_PAD src0_sel:WORD_0 src1_sel:DWORD
	v_lshlrev_b32_e32 v123, 4, v85
	v_mul_u32_u24_sdwa v85, v84, s4 dst_sel:DWORD dst_unused:UNUSED_PAD src0_sel:WORD_0 src1_sel:DWORD
	v_lshrrev_b32_e32 v126, 19, v93
	v_lshrrev_b32_e32 v124, 19, v85
	v_mul_lo_u16_e32 v93, 11, v126
	v_mul_lo_u16_e32 v96, 11, v106
	;; [unrolled: 1-line block ×3, first 2 shown]
	v_sub_u16_e32 v92, v92, v93
	v_sub_u16_e32 v84, v84, v85
	v_lshlrev_b32_e32 v127, 4, v92
	v_sub_u16_e32 v100, v68, v96
	global_load_dwordx4 v[76:79], v119, s[8:9]
	global_load_dwordx4 v[80:83], v121, s[8:9]
	v_lshlrev_b32_e32 v125, 4, v84
	global_load_dwordx4 v[84:87], v123, s[8:9]
	global_load_dwordx4 v[88:91], v125, s[8:9]
	;; [unrolled: 1-line block ×4, first 2 shown]
	v_lshlrev_b32_sdwa v107, v69, v100 dst_sel:DWORD dst_unused:UNUSED_PAD src0_sel:DWORD src1_sel:BYTE_0
	global_load_dwordx4 v[100:103], v107, s[8:9]
	v_mul_u32_u24_e32 v104, 0x160, v104
	v_mul_u32_u24_e32 v106, 0x160, v106
	v_add3_u32 v128, 0, v104, v105
	v_add3_u32 v129, 0, v106, v107
	s_waitcnt vmcnt(0) lgkmcnt(0)
	s_barrier
	v_mul_f64 v[104:105], v[46:47], v[78:79]
	v_mul_f64 v[78:79], v[44:45], v[78:79]
	v_mul_f64 v[108:109], v[54:55], v[86:87]
	v_mul_f64 v[86:87], v[52:53], v[86:87]
	v_mul_f64 v[112:113], v[58:59], v[94:95]
	v_mul_f64 v[94:95], v[56:57], v[94:95]
	v_mul_f64 v[114:115], v[42:43], v[98:99]
	v_mul_f64 v[98:99], v[40:41], v[98:99]
	v_mul_f64 v[106:107], v[50:51], v[82:83]
	v_mul_f64 v[82:83], v[48:49], v[82:83]
	v_mul_f64 v[110:111], v[62:63], v[90:91]
	v_mul_f64 v[90:91], v[60:61], v[90:91]
	v_mul_f64 v[116:117], v[38:39], v[102:103]
	v_mul_f64 v[102:103], v[36:37], v[102:103]
	v_fma_f64 v[44:45], v[44:45], v[76:77], -v[104:105]
	v_fma_f64 v[46:47], v[46:47], v[76:77], v[78:79]
	v_fma_f64 v[52:53], v[52:53], v[84:85], -v[108:109]
	v_fma_f64 v[54:55], v[54:55], v[84:85], v[86:87]
	;; [unrolled: 2-line block ×7, first 2 shown]
	v_add_f64 v[36:37], v[32:33], -v[44:45]
	v_add_f64 v[38:39], v[34:35], -v[46:47]
	;; [unrolled: 1-line block ×14, first 2 shown]
	v_fma_f64 v[4:5], v[4:5], 2.0, -v[56:57]
	v_fma_f64 v[6:7], v[6:7], 2.0, -v[58:59]
	;; [unrolled: 1-line block ×12, first 2 shown]
	ds_write_b128 v128, v[56:59] offset:176
	ds_write_b128 v128, v[4:7]
	ds_write_b128 v129, v[0:3]
	ds_write_b128 v129, v[60:63] offset:176
	v_mul_u32_u24_e32 v0, 0x160, v118
	v_add3_u32 v0, 0, v0, v119
	v_fma_f64 v[16:17], v[16:17], 2.0, -v[52:53]
	v_fma_f64 v[18:19], v[18:19], 2.0, -v[54:55]
	ds_write_b128 v0, v[32:35]
	ds_write_b128 v0, v[36:39] offset:176
	v_mul_u32_u24_e32 v0, 0x160, v120
	v_add3_u32 v0, 0, v0, v121
	ds_write_b128 v0, v[24:27]
	ds_write_b128 v0, v[40:43] offset:176
	v_mul_u32_u24_e32 v0, 0x160, v122
	v_add3_u32 v0, 0, v0, v123
	;; [unrolled: 4-line block ×4, first 2 shown]
	ds_write_b128 v0, v[16:19]
	ds_write_b128 v0, v[52:55] offset:176
	s_and_saveexec_b64 s[2:3], vcc
	s_cbranch_execz .LBB0_19
; %bb.18:
	v_add_u32_e32 v0, 0x302, v64
	v_mul_u32_u24_sdwa v1, v0, s4 dst_sel:DWORD dst_unused:UNUSED_PAD src0_sel:WORD_0 src1_sel:DWORD
	v_lshrrev_b32_e32 v8, 19, v1
	v_mul_lo_u16_e32 v1, 11, v8
	v_sub_u16_e32 v0, v0, v1
	v_lshlrev_b32_e32 v9, 4, v0
	global_load_dwordx4 v[0:3], v9, s[8:9]
	v_mul_lo_u16_e32 v8, 22, v8
	v_lshlrev_b32_e32 v8, 4, v8
	v_add3_u32 v8, 0, v9, v8
	s_waitcnt vmcnt(0)
	v_mul_f64 v[4:5], v[28:29], v[2:3]
	v_mul_f64 v[2:3], v[30:31], v[2:3]
	v_fma_f64 v[4:5], v[30:31], v[0:1], v[4:5]
	v_fma_f64 v[0:1], v[28:29], v[0:1], -v[2:3]
	v_add_f64 v[2:3], v[22:23], -v[4:5]
	v_add_f64 v[0:1], v[20:21], -v[0:1]
	v_fma_f64 v[6:7], v[22:23], 2.0, -v[2:3]
	v_fma_f64 v[4:5], v[20:21], 2.0, -v[0:1]
	ds_write_b128 v8, v[4:7]
	ds_write_b128 v8, v[0:3] offset:176
.LBB0_19:
	s_or_b64 exec, exec, s[2:3]
	v_lshrrev_b16_e32 v0, 1, v64
	v_and_b32_e32 v0, 0x7f, v0
	v_mul_lo_u16_e32 v0, 0xbb, v0
	v_lshrrev_b16_e32 v127, 11, v0
	v_mul_lo_u16_e32 v0, 22, v127
	v_sub_u16_e32 v128, v64, v0
	v_mov_b32_e32 v32, 5
	v_lshlrev_b32_sdwa v8, v32, v128 dst_sel:DWORD dst_unused:UNUSED_PAD src0_sel:DWORD src1_sel:BYTE_0
	v_lshrrev_b32_e32 v129, 20, v75
	s_waitcnt lgkmcnt(0)
	s_barrier
	global_load_dwordx4 v[0:3], v8, s[8:9] offset:192
	global_load_dwordx4 v[4:7], v8, s[8:9] offset:176
	v_mul_lo_u16_e32 v8, 22, v129
	v_sub_u16_e32 v130, v65, v8
	v_lshlrev_b32_e32 v16, 5, v130
	v_lshrrev_b32_e32 v131, 20, v74
	global_load_dwordx4 v[8:11], v16, s[8:9] offset:192
	global_load_dwordx4 v[12:15], v16, s[8:9] offset:176
	v_mul_lo_u16_e32 v16, 22, v131
	v_sub_u16_e32 v132, v72, v16
	v_lshlrev_b32_e32 v24, 5, v132
	v_lshrrev_b32_e32 v133, 20, v73
	global_load_dwordx4 v[16:19], v24, s[8:9] offset:192
	global_load_dwordx4 v[20:23], v24, s[8:9] offset:176
	v_mul_lo_u16_e32 v24, 22, v133
	v_sub_u16_e32 v134, v71, v24
	v_lshlrev_b32_e32 v33, 5, v134
	global_load_dwordx4 v[24:27], v33, s[8:9] offset:192
	global_load_dwordx4 v[28:31], v33, s[8:9] offset:176
	v_mov_b32_e32 v33, 1
	v_lshrrev_b16_sdwa v33, v33, v68 dst_sel:DWORD dst_unused:UNUSED_PAD src0_sel:DWORD src1_sel:BYTE_0
	v_mul_lo_u16_e32 v33, 0xbb, v33
	v_lshrrev_b16_e32 v135, 11, v33
	v_mul_lo_u16_e32 v33, 22, v135
	v_sub_u16_e32 v136, v68, v33
	v_lshlrev_b32_sdwa v40, v32, v136 dst_sel:DWORD dst_unused:UNUSED_PAD src0_sel:DWORD src1_sel:BYTE_0
	global_load_dwordx4 v[32:35], v40, s[8:9] offset:176
	global_load_dwordx4 v[36:39], v40, s[8:9] offset:192
	ds_read_b128 v[40:43], v70
	ds_read_b128 v[44:47], v137 offset:8800
	ds_read_b128 v[48:51], v137 offset:10560
	ds_read_b128 v[52:55], v137
	ds_read_b128 v[56:59], v137 offset:3520
	ds_read_b128 v[60:63], v137 offset:19360
	;; [unrolled: 1-line block ×11, first 2 shown]
	s_mov_b32 s2, 0xe8584caa
	s_mov_b32 s3, 0x3febb67a
	;; [unrolled: 1-line block ×4, first 2 shown]
	s_waitcnt vmcnt(0) lgkmcnt(0)
	s_barrier
	s_mov_b32 s6, 0x4755a5e
	s_mov_b32 s7, 0x3fe2cf23
	;; [unrolled: 1-line block ×7, first 2 shown]
	s_movk_i32 s18, 0x13f0
	s_movk_i32 s19, 0x1000
	v_mul_f64 v[121:122], v[93:94], v[2:3]
	v_mul_f64 v[119:120], v[46:47], v[6:7]
	;; [unrolled: 1-line block ×14, first 2 shown]
	v_fma_f64 v[71:72], v[71:72], v[8:9], -v[109:110]
	v_fma_f64 v[73:74], v[73:74], v[8:9], v[10:11]
	v_fma_f64 v[99:100], v[99:100], v[16:17], -v[113:114]
	v_fma_f64 v[101:102], v[101:102], v[16:17], v[18:19]
	;; [unrolled: 2-line block ×3, first 2 shown]
	v_mul_f64 v[123:124], v[50:51], v[34:35]
	v_mul_f64 v[125:126], v[62:63], v[38:39]
	;; [unrolled: 1-line block ×4, first 2 shown]
	v_fma_f64 v[6:7], v[91:92], v[0:1], -v[121:122]
	v_fma_f64 v[2:3], v[93:94], v[0:1], v[2:3]
	v_mul_f64 v[115:116], v[97:98], v[30:31]
	v_mul_f64 v[30:31], v[95:96], v[30:31]
	v_fma_f64 v[16:17], v[48:49], v[32:33], -v[123:124]
	v_fma_f64 v[18:19], v[60:61], v[36:37], -v[125:126]
	;; [unrolled: 1-line block ×3, first 2 shown]
	v_fma_f64 v[77:78], v[77:78], v[12:13], v[14:15]
	v_fma_f64 v[79:80], v[79:80], v[20:21], -v[111:112]
	v_fma_f64 v[81:82], v[81:82], v[20:21], v[22:23]
	v_fma_f64 v[91:92], v[105:106], v[24:25], v[26:27]
	;; [unrolled: 1-line block ×4, first 2 shown]
	v_add_f64 v[10:11], v[52:53], v[8:9]
	v_add_f64 v[12:13], v[8:9], v[6:7]
	;; [unrolled: 1-line block ×4, first 2 shown]
	v_fma_f64 v[95:96], v[95:96], v[28:29], -v[115:116]
	v_fma_f64 v[97:98], v[97:98], v[28:29], v[30:31]
	v_fma_f64 v[103:104], v[103:104], v[24:25], -v[117:118]
	v_add_f64 v[14:15], v[4:5], -v[2:3]
	v_add_f64 v[4:5], v[54:55], v[4:5]
	v_add_f64 v[24:25], v[8:9], -v[6:7]
	v_add_f64 v[8:9], v[40:41], v[16:17]
	v_add_f64 v[28:29], v[0:1], -v[22:23]
	v_fma_f64 v[12:13], v[12:13], -0.5, v[52:53]
	v_add_f64 v[30:31], v[42:43], v[0:1]
	v_fma_f64 v[20:21], v[20:21], -0.5, v[54:55]
	v_add_f64 v[32:33], v[0:1], v[22:23]
	v_add_f64 v[0:1], v[10:11], v[6:7]
	v_fma_f64 v[6:7], v[26:27], -0.5, v[40:41]
	v_add_f64 v[2:3], v[4:5], v[2:3]
	v_add_f64 v[4:5], v[8:9], v[18:19]
	v_fma_f64 v[8:9], v[14:15], s[2:3], v[12:13]
	v_fma_f64 v[12:13], v[14:15], s[4:5], v[12:13]
	;; [unrolled: 1-line block ×4, first 2 shown]
	v_add_f64 v[24:25], v[75:76], v[71:72]
	v_fma_f64 v[26:27], v[32:33], -0.5, v[42:43]
	v_add_f64 v[32:33], v[16:17], -v[18:19]
	v_fma_f64 v[16:17], v[28:29], s[2:3], v[6:7]
	v_fma_f64 v[20:21], v[28:29], s[4:5], v[6:7]
	v_add_f64 v[28:29], v[77:78], v[73:74]
	v_add_f64 v[38:39], v[79:80], v[99:100]
	;; [unrolled: 1-line block ×4, first 2 shown]
	v_fma_f64 v[34:35], v[24:25], -0.5, v[56:57]
	v_add_f64 v[36:37], v[77:78], -v[73:74]
	v_add_f64 v[42:43], v[75:76], -v[71:72]
	v_add_f64 v[44:45], v[83:84], v[79:80]
	v_fma_f64 v[40:41], v[28:29], -0.5, v[58:59]
	v_fma_f64 v[38:39], v[38:39], -0.5, v[83:84]
	v_add_f64 v[46:47], v[81:82], -v[101:102]
	v_fma_f64 v[18:19], v[32:33], s[4:5], v[26:27]
	v_fma_f64 v[22:23], v[32:33], s[2:3], v[26:27]
	v_add_f64 v[24:25], v[30:31], v[71:72]
	v_fma_f64 v[28:29], v[36:37], s[2:3], v[34:35]
	v_fma_f64 v[32:33], v[36:37], s[4:5], v[34:35]
	;; [unrolled: 1-line block ×3, first 2 shown]
	v_add_f64 v[48:49], v[81:82], v[101:102]
	v_fma_f64 v[34:35], v[42:43], s[2:3], v[40:41]
	v_add_f64 v[36:37], v[44:45], v[99:100]
	v_add_f64 v[42:43], v[95:96], v[103:104]
	v_fma_f64 v[40:41], v[46:47], s[2:3], v[38:39]
	v_fma_f64 v[44:45], v[46:47], s[4:5], v[38:39]
	v_add_f64 v[38:39], v[97:98], v[91:92]
	v_add_f64 v[26:27], v[58:59], v[77:78]
	;; [unrolled: 1-line block ×3, first 2 shown]
	v_fma_f64 v[48:49], v[48:49], -0.5, v[85:86]
	v_add_f64 v[50:51], v[79:80], -v[99:100]
	v_add_f64 v[52:53], v[87:88], v[95:96]
	v_fma_f64 v[54:55], v[42:43], -0.5, v[87:88]
	v_add_f64 v[56:57], v[97:98], -v[91:92]
	v_add_f64 v[58:59], v[89:90], v[97:98]
	;; [unrolled: 3-line block ×3, first 2 shown]
	v_add_f64 v[38:39], v[46:47], v[101:102]
	v_fma_f64 v[42:43], v[50:51], s[4:5], v[48:49]
	v_fma_f64 v[46:47], v[50:51], s[2:3], v[48:49]
	v_add_f64 v[48:49], v[52:53], v[103:104]
	v_fma_f64 v[52:53], v[56:57], s[2:3], v[54:55]
	v_fma_f64 v[56:57], v[56:57], s[4:5], v[54:55]
	v_add_f64 v[50:51], v[58:59], v[91:92]
	v_fma_f64 v[54:55], v[62:63], s[4:5], v[60:61]
	v_fma_f64 v[58:59], v[62:63], s[2:3], v[60:61]
	v_mul_u32_u24_e32 v60, 0x420, v127
	v_lshlrev_b32_sdwa v61, v69, v128 dst_sel:DWORD dst_unused:UNUSED_PAD src0_sel:DWORD src1_sel:BYTE_0
	v_add3_u32 v60, 0, v60, v61
	ds_write_b128 v60, v[0:3]
	ds_write_b128 v60, v[8:11] offset:352
	ds_write_b128 v60, v[12:15] offset:704
	v_mul_u32_u24_e32 v0, 0x420, v135
	v_lshlrev_b32_sdwa v1, v69, v136 dst_sel:DWORD dst_unused:UNUSED_PAD src0_sel:DWORD src1_sel:BYTE_0
	v_add3_u32 v0, 0, v0, v1
	ds_write_b128 v0, v[4:7]
	ds_write_b128 v0, v[16:19] offset:352
	ds_write_b128 v0, v[20:23] offset:704
	v_mul_u32_u24_e32 v0, 0x420, v129
	v_lshlrev_b32_e32 v1, 4, v130
	v_add3_u32 v0, 0, v0, v1
	ds_write_b128 v0, v[24:27]
	ds_write_b128 v0, v[28:31] offset:352
	ds_write_b128 v0, v[32:35] offset:704
	v_mul_u32_u24_e32 v0, 0x420, v131
	v_lshlrev_b32_e32 v1, 4, v132
	;; [unrolled: 6-line block ×3, first 2 shown]
	v_add3_u32 v0, 0, v0, v1
	s_movk_i32 s2, 0x42
	ds_write_b128 v0, v[48:51]
	ds_write_b128 v0, v[52:55] offset:352
	ds_write_b128 v0, v[56:59] offset:704
	v_add_u32_e32 v0, 0xffffffbe, v64
	v_cmp_gt_u32_e64 s[2:3], s2, v64
	v_cndmask_b32_e64 v3, v0, v64, s[2:3]
	v_lshlrev_b32_e32 v0, 2, v3
	v_mov_b32_e32 v1, 0
	v_lshlrev_b64 v[4:5], 4, v[0:1]
	v_mov_b32_e32 v2, s9
	v_add_co_u32_e64 v4, s[2:3], s8, v4
	v_addc_co_u32_e64 v5, s[2:3], v2, v5, s[2:3]
	s_waitcnt lgkmcnt(0)
	s_barrier
	global_load_dwordx4 v[7:10], v[4:5], off offset:880
	global_load_dwordx4 v[11:14], v[4:5], off offset:896
	;; [unrolled: 1-line block ×4, first 2 shown]
	s_movk_i32 s2, 0xf9
	v_mul_lo_u16_sdwa v0, v68, s2 dst_sel:DWORD dst_unused:UNUSED_PAD src0_sel:BYTE_0 src1_sel:DWORD
	v_lshrrev_b16_e32 v0, 14, v0
	v_mul_lo_u16_e32 v4, 0x42, v0
	v_sub_u16_e32 v4, v68, v4
	v_mov_b32_e32 v5, 6
	v_lshlrev_b32_sdwa v5, v5, v4 dst_sel:DWORD dst_unused:UNUSED_PAD src0_sel:DWORD src1_sel:BYTE_0
	global_load_dwordx4 v[23:26], v5, s[8:9] offset:880
	global_load_dwordx4 v[27:30], v5, s[8:9] offset:896
	;; [unrolled: 1-line block ×4, first 2 shown]
	s_mov_b32 s2, 0xf83f
	v_mul_u32_u24_sdwa v5, v65, s2 dst_sel:DWORD dst_unused:UNUSED_PAD src0_sel:WORD_0 src1_sel:DWORD
	v_lshrrev_b32_e32 v5, 22, v5
	v_mul_lo_u16_e32 v6, 0x42, v5
	v_sub_u16_e32 v6, v65, v6
	v_lshlrev_b32_e32 v55, 6, v6
	global_load_dwordx4 v[39:42], v55, s[8:9] offset:880
	global_load_dwordx4 v[43:46], v55, s[8:9] offset:896
	global_load_dwordx4 v[47:50], v55, s[8:9] offset:912
	global_load_dwordx4 v[51:54], v55, s[8:9] offset:928
	ds_read_b128 v[55:58], v70
	ds_read_b128 v[59:62], v137 offset:5280
	ds_read_b128 v[71:74], v137 offset:7040
	;; [unrolled: 1-line block ×4, first 2 shown]
	ds_read_b128 v[83:86], v137
	ds_read_b128 v[87:90], v137 offset:3520
	ds_read_b128 v[91:94], v137 offset:10560
	;; [unrolled: 1-line block ×9, first 2 shown]
	s_mov_b32 s4, 0x134454ff
	s_mov_b32 s5, 0x3fee6f0e
	s_mov_b32 s10, s4
	s_movk_i32 s2, 0x41
	v_mov_b32_e32 v63, 0x14a0
	v_cmp_lt_u32_e64 s[2:3], s2, v64
	v_cndmask_b32_e64 v63, 0, v63, s[2:3]
	v_lshlrev_b32_e32 v3, 4, v3
	v_add3_u32 v3, 0, v63, v3
	s_waitcnt vmcnt(0) lgkmcnt(0)
	s_barrier
	v_mul_u32_u24_e32 v0, 0x14a0, v0
	v_mul_f64 v[123:124], v[61:62], v[9:10]
	v_mul_f64 v[9:10], v[59:60], v[9:10]
	;; [unrolled: 1-line block ×6, first 2 shown]
	v_fma_f64 v[59:60], v[59:60], v[7:8], -v[123:124]
	v_mul_f64 v[123:124], v[109:110], v[21:22]
	v_mul_f64 v[21:22], v[107:108], v[21:22]
	v_fma_f64 v[61:62], v[61:62], v[7:8], v[9:10]
	v_fma_f64 v[9:10], v[91:92], v[11:12], -v[125:126]
	v_fma_f64 v[13:14], v[93:94], v[11:12], v[13:14]
	v_fma_f64 v[11:12], v[75:76], v[15:16], -v[127:128]
	v_fma_f64 v[17:18], v[77:78], v[15:16], v[17:18]
	v_mul_f64 v[7:8], v[73:74], v[25:26]
	v_fma_f64 v[15:16], v[107:108], v[19:20], -v[123:124]
	v_fma_f64 v[21:22], v[109:110], v[19:20], v[21:22]
	v_mul_f64 v[19:20], v[71:72], v[25:26]
	v_mul_f64 v[25:26], v[101:102], v[29:30]
	;; [unrolled: 1-line block ×5, first 2 shown]
	v_fma_f64 v[71:72], v[71:72], v[23:24], -v[7:8]
	v_mul_f64 v[7:8], v[117:118], v[37:38]
	v_mul_f64 v[37:38], v[115:116], v[37:38]
	v_fma_f64 v[73:74], v[73:74], v[23:24], v[19:20]
	v_mul_f64 v[19:20], v[97:98], v[41:42]
	v_fma_f64 v[77:78], v[99:100], v[27:28], -v[25:26]
	v_fma_f64 v[91:92], v[101:102], v[27:28], v[29:30]
	v_fma_f64 v[29:30], v[79:80], v[31:32], -v[75:76]
	v_fma_f64 v[33:34], v[81:82], v[31:32], v[33:34]
	v_fma_f64 v[31:32], v[115:116], v[35:36], -v[7:8]
	v_fma_f64 v[37:38], v[117:118], v[35:36], v[37:38]
	v_mul_f64 v[7:8], v[95:96], v[41:42]
	v_mul_f64 v[23:24], v[105:106], v[45:46]
	v_add_f64 v[25:26], v[83:84], v[59:60]
	v_add_f64 v[35:36], v[9:10], v[11:12]
	v_fma_f64 v[75:76], v[95:96], v[39:40], -v[19:20]
	v_mul_f64 v[19:20], v[113:114], v[49:50]
	v_mul_f64 v[41:42], v[111:112], v[49:50]
	;; [unrolled: 1-line block ×3, first 2 shown]
	v_fma_f64 v[49:50], v[97:98], v[39:40], v[7:8]
	v_fma_f64 v[79:80], v[103:104], v[43:44], -v[23:24]
	v_add_f64 v[7:8], v[25:26], v[9:10]
	v_fma_f64 v[23:24], v[35:36], -0.5, v[83:84]
	v_add_f64 v[25:26], v[61:62], -v[21:22]
	v_fma_f64 v[93:94], v[111:112], v[47:48], -v[19:20]
	v_fma_f64 v[95:96], v[113:114], v[47:48], v[41:42]
	v_mul_f64 v[19:20], v[121:122], v[53:54]
	v_add_f64 v[41:42], v[59:60], v[15:16]
	v_fma_f64 v[81:82], v[105:106], v[43:44], v[27:28]
	v_mul_f64 v[27:28], v[119:120], v[53:54]
	v_add_f64 v[39:40], v[13:14], -v[17:18]
	v_fma_f64 v[35:36], v[25:26], s[4:5], v[23:24]
	v_add_f64 v[43:44], v[59:60], -v[9:10]
	v_add_f64 v[45:46], v[15:16], -v[11:12]
	v_fma_f64 v[53:54], v[119:120], v[51:52], -v[19:20]
	v_fma_f64 v[19:20], v[41:42], -0.5, v[83:84]
	v_add_f64 v[41:42], v[85:86], v[61:62]
	v_add_f64 v[7:8], v[7:8], v[11:12]
	v_fma_f64 v[97:98], v[121:122], v[51:52], v[27:28]
	v_fma_f64 v[27:28], v[39:40], s[6:7], v[35:36]
	;; [unrolled: 1-line block ×3, first 2 shown]
	v_add_f64 v[35:36], v[43:44], v[45:46]
	v_add_f64 v[43:44], v[13:14], v[17:18]
	v_fma_f64 v[45:46], v[39:40], s[10:11], v[19:20]
	v_add_f64 v[47:48], v[9:10], -v[59:60]
	v_add_f64 v[51:52], v[11:12], -v[15:16]
	v_fma_f64 v[19:20], v[39:40], s[4:5], v[19:20]
	v_add_f64 v[41:42], v[41:42], v[13:14]
	v_add_f64 v[7:8], v[7:8], v[15:16]
	v_add_f64 v[59:60], v[59:60], -v[15:16]
	v_fma_f64 v[43:44], v[43:44], -0.5, v[85:86]
	v_fma_f64 v[15:16], v[39:40], s[14:15], v[23:24]
	v_fma_f64 v[23:24], v[25:26], s[6:7], v[45:46]
	v_add_f64 v[39:40], v[47:48], v[51:52]
	v_fma_f64 v[25:26], v[25:26], s[14:15], v[19:20]
	v_add_f64 v[41:42], v[41:42], v[17:18]
	v_add_f64 v[47:48], v[61:62], v[21:22]
	v_add_f64 v[51:52], v[9:10], -v[11:12]
	v_fma_f64 v[45:46], v[59:60], s[10:11], v[43:44]
	v_fma_f64 v[11:12], v[35:36], s[16:17], v[27:28]
	;; [unrolled: 1-line block ×5, first 2 shown]
	v_add_f64 v[9:10], v[41:42], v[21:22]
	v_fma_f64 v[25:26], v[47:48], -0.5, v[85:86]
	v_add_f64 v[35:36], v[61:62], -v[13:14]
	v_add_f64 v[39:40], v[21:22], -v[17:18]
	v_add_f64 v[41:42], v[55:56], v[71:72]
	v_fma_f64 v[27:28], v[51:52], s[14:15], v[45:46]
	v_fma_f64 v[43:44], v[59:60], s[4:5], v[43:44]
	v_add_f64 v[45:46], v[77:78], v[29:30]
	v_add_f64 v[13:14], v[13:14], -v[61:62]
	v_fma_f64 v[47:48], v[51:52], s[4:5], v[25:26]
	v_add_f64 v[17:18], v[17:18], -v[21:22]
	v_fma_f64 v[21:22], v[51:52], s[10:11], v[25:26]
	v_add_f64 v[25:26], v[35:36], v[39:40]
	v_add_f64 v[35:36], v[41:42], v[77:78]
	v_fma_f64 v[39:40], v[51:52], s[6:7], v[43:44]
	v_fma_f64 v[41:42], v[45:46], -0.5, v[55:56]
	v_add_f64 v[43:44], v[73:74], -v[37:38]
	v_fma_f64 v[45:46], v[59:60], s[14:15], v[47:48]
	v_add_f64 v[47:48], v[13:14], v[17:18]
	v_fma_f64 v[51:52], v[59:60], s[6:7], v[21:22]
	v_add_f64 v[59:60], v[71:72], v[31:32]
	v_add_f64 v[35:36], v[35:36], v[29:30]
	v_fma_f64 v[13:14], v[25:26], s[16:17], v[27:28]
	v_fma_f64 v[17:18], v[25:26], s[16:17], v[39:40]
	;; [unrolled: 1-line block ×3, first 2 shown]
	v_add_f64 v[61:62], v[91:92], -v[33:34]
	v_fma_f64 v[21:22], v[47:48], s[16:17], v[45:46]
	v_fma_f64 v[25:26], v[47:48], s[16:17], v[51:52]
	v_fma_f64 v[45:46], v[59:60], -0.5, v[55:56]
	v_add_f64 v[27:28], v[35:36], v[31:32]
	v_add_f64 v[35:36], v[71:72], -v[77:78]
	v_add_f64 v[47:48], v[31:32], -v[29:30]
	v_fma_f64 v[41:42], v[43:44], s[10:11], v[41:42]
	v_add_f64 v[51:52], v[57:58], v[73:74]
	v_fma_f64 v[39:40], v[61:62], s[6:7], v[39:40]
	v_add_f64 v[55:56], v[91:92], v[33:34]
	v_fma_f64 v[59:60], v[61:62], s[10:11], v[45:46]
	v_add_f64 v[83:84], v[77:78], -v[71:72]
	v_add_f64 v[85:86], v[29:30], -v[31:32]
	v_add_f64 v[35:36], v[35:36], v[47:48]
	v_fma_f64 v[41:42], v[61:62], s[14:15], v[41:42]
	v_fma_f64 v[45:46], v[61:62], s[4:5], v[45:46]
	v_add_f64 v[47:48], v[51:52], v[91:92]
	v_fma_f64 v[51:52], v[55:56], -0.5, v[57:58]
	v_add_f64 v[55:56], v[71:72], -v[31:32]
	v_fma_f64 v[59:60], v[43:44], s[6:7], v[59:60]
	v_add_f64 v[61:62], v[83:84], v[85:86]
	v_fma_f64 v[31:32], v[35:36], s[16:17], v[39:40]
	v_fma_f64 v[35:36], v[35:36], s[16:17], v[41:42]
	;; [unrolled: 1-line block ×3, first 2 shown]
	v_add_f64 v[45:46], v[47:48], v[33:34]
	v_add_f64 v[47:48], v[73:74], v[37:38]
	v_fma_f64 v[71:72], v[55:56], s[10:11], v[51:52]
	v_add_f64 v[77:78], v[77:78], -v[29:30]
	v_fma_f64 v[39:40], v[61:62], s[16:17], v[59:60]
	v_add_f64 v[59:60], v[79:80], v[93:94]
	v_add_f64 v[83:84], v[73:74], -v[91:92]
	v_fma_f64 v[43:44], v[61:62], s[16:17], v[41:42]
	v_add_f64 v[85:86], v[37:38], -v[33:34]
	v_fma_f64 v[41:42], v[47:48], -0.5, v[57:58]
	v_add_f64 v[29:30], v[45:46], v[37:38]
	v_fma_f64 v[45:46], v[77:78], s[14:15], v[71:72]
	v_add_f64 v[47:48], v[87:88], v[75:76]
	v_add_f64 v[73:74], v[91:92], -v[73:74]
	v_add_f64 v[33:34], v[33:34], -v[37:38]
	v_fma_f64 v[57:58], v[59:60], -0.5, v[87:88]
	v_add_f64 v[59:60], v[49:50], -v[97:98]
	v_fma_f64 v[71:72], v[77:78], s[4:5], v[41:42]
	v_fma_f64 v[37:38], v[77:78], s[10:11], v[41:42]
	v_add_f64 v[61:62], v[83:84], v[85:86]
	v_fma_f64 v[51:52], v[55:56], s[4:5], v[51:52]
	v_add_f64 v[41:42], v[47:48], v[79:80]
	v_add_f64 v[73:74], v[73:74], v[33:34]
	v_add_f64 v[85:86], v[75:76], -v[79:80]
	v_add_f64 v[91:92], v[53:54], -v[93:94]
	v_fma_f64 v[71:72], v[55:56], s[14:15], v[71:72]
	v_fma_f64 v[55:56], v[55:56], s[6:7], v[37:38]
	;; [unrolled: 1-line block ×3, first 2 shown]
	v_add_f64 v[83:84], v[81:82], -v[95:96]
	v_fma_f64 v[51:52], v[77:78], s[6:7], v[51:52]
	v_add_f64 v[77:78], v[75:76], v[53:54]
	v_add_f64 v[99:100], v[41:42], v[93:94]
	v_fma_f64 v[33:34], v[61:62], s[16:17], v[45:46]
	v_fma_f64 v[41:42], v[73:74], s[16:17], v[71:72]
	;; [unrolled: 1-line block ×3, first 2 shown]
	v_add_f64 v[55:56], v[81:82], v[95:96]
	v_add_f64 v[73:74], v[49:50], v[97:98]
	;; [unrolled: 1-line block ×4, first 2 shown]
	v_fma_f64 v[101:102], v[83:84], s[6:7], v[47:48]
	v_fma_f64 v[77:78], v[77:78], -0.5, v[87:88]
	v_add_f64 v[47:48], v[99:100], v[53:54]
	v_fma_f64 v[57:58], v[59:60], s[10:11], v[57:58]
	v_add_f64 v[71:72], v[79:80], -v[75:76]
	v_add_f64 v[87:88], v[93:94], -v[53:54]
	v_fma_f64 v[55:56], v[55:56], -0.5, v[89:90]
	v_add_f64 v[53:54], v[75:76], -v[53:54]
	v_add_f64 v[75:76], v[79:80], -v[93:94]
	v_fma_f64 v[73:74], v[73:74], -0.5, v[89:90]
	v_add_f64 v[79:80], v[91:92], v[81:82]
	v_fma_f64 v[37:38], v[61:62], s[16:17], v[51:52]
	v_fma_f64 v[61:62], v[83:84], s[10:11], v[77:78]
	;; [unrolled: 1-line block ×3, first 2 shown]
	v_add_f64 v[71:72], v[71:72], v[87:88]
	v_fma_f64 v[77:78], v[83:84], s[4:5], v[77:78]
	v_fma_f64 v[83:84], v[53:54], s[10:11], v[55:56]
	v_add_f64 v[87:88], v[49:50], -v[81:82]
	v_add_f64 v[89:90], v[97:98], -v[95:96]
	v_fma_f64 v[91:92], v[75:76], s[4:5], v[73:74]
	v_add_f64 v[49:50], v[81:82], -v[49:50]
	v_add_f64 v[81:82], v[95:96], -v[97:98]
	v_fma_f64 v[73:74], v[75:76], s[10:11], v[73:74]
	v_fma_f64 v[55:56], v[53:54], s[4:5], v[55:56]
	v_add_f64 v[79:80], v[79:80], v[95:96]
	v_fma_f64 v[83:84], v[75:76], s[14:15], v[83:84]
	v_add_f64 v[87:88], v[87:88], v[89:90]
	v_fma_f64 v[61:62], v[59:60], s[6:7], v[61:62]
	v_fma_f64 v[89:90], v[53:54], s[14:15], v[91:92]
	v_add_f64 v[81:82], v[49:50], v[81:82]
	v_fma_f64 v[77:78], v[59:60], s[14:15], v[77:78]
	v_fma_f64 v[73:74], v[53:54], s[6:7], v[73:74]
	;; [unrolled: 1-line block ×3, first 2 shown]
	v_add_f64 v[49:50], v[79:80], v[97:98]
	v_fma_f64 v[51:52], v[85:86], s[16:17], v[101:102]
	v_fma_f64 v[53:54], v[87:88], s[16:17], v[83:84]
	;; [unrolled: 1-line block ×8, first 2 shown]
	ds_write_b128 v3, v[7:10]
	ds_write_b128 v3, v[11:14] offset:1056
	ds_write_b128 v3, v[19:22] offset:2112
	;; [unrolled: 1-line block ×4, first 2 shown]
	v_lshlrev_b32_sdwa v3, v69, v4 dst_sel:DWORD dst_unused:UNUSED_PAD src0_sel:DWORD src1_sel:BYTE_0
	v_add3_u32 v0, 0, v0, v3
	ds_write_b128 v0, v[27:30]
	ds_write_b128 v0, v[31:34] offset:1056
	ds_write_b128 v0, v[39:42] offset:2112
	;; [unrolled: 1-line block ×4, first 2 shown]
	v_mul_u32_u24_e32 v0, 0x14a0, v5
	v_lshlrev_b32_e32 v3, 4, v6
	v_add3_u32 v0, 0, v0, v3
	ds_write_b128 v0, v[47:50]
	ds_write_b128 v0, v[51:54] offset:1056
	ds_write_b128 v0, v[59:62] offset:2112
	;; [unrolled: 1-line block ×4, first 2 shown]
	v_lshlrev_b32_e32 v0, 2, v64
	v_lshlrev_b64 v[3:4], 4, v[0:1]
	s_waitcnt lgkmcnt(0)
	v_add_co_u32_e64 v0, s[2:3], s8, v3
	v_addc_co_u32_e64 v4, s[2:3], v2, v4, s[2:3]
	v_add_co_u32_e64 v19, s[2:3], s18, v0
	v_addc_co_u32_e64 v20, s[2:3], 0, v4, s[2:3]
	v_add_co_u32_e64 v3, s[2:3], s19, v0
	v_addc_co_u32_e64 v4, s[2:3], 0, v4, s[2:3]
	s_barrier
	global_load_dwordx4 v[3:6], v[3:4], off offset:1008
	s_nop 0
	global_load_dwordx4 v[7:10], v[19:20], off offset:48
	global_load_dwordx4 v[11:14], v[19:20], off offset:32
	;; [unrolled: 1-line block ×3, first 2 shown]
	v_lshlrev_b32_e32 v0, 2, v68
	v_lshlrev_b64 v[19:20], 4, v[0:1]
	v_add_co_u32_e64 v0, s[2:3], s8, v19
	v_addc_co_u32_e64 v19, s[2:3], v2, v20, s[2:3]
	v_add_co_u32_e64 v35, s[2:3], s18, v0
	v_addc_co_u32_e64 v36, s[2:3], 0, v19, s[2:3]
	v_add_co_u32_e64 v37, s[2:3], s19, v0
	v_addc_co_u32_e64 v38, s[2:3], 0, v19, s[2:3]
	v_lshlrev_b32_e32 v0, 2, v65
	global_load_dwordx4 v[19:22], v[37:38], off offset:1008
	global_load_dwordx4 v[23:26], v[35:36], off offset:48
	;; [unrolled: 1-line block ×4, first 2 shown]
	v_lshlrev_b64 v[35:36], 4, v[0:1]
	v_add_co_u32_e64 v0, s[2:3], s8, v35
	v_addc_co_u32_e64 v2, s[2:3], v2, v36, s[2:3]
	v_add_co_u32_e64 v35, s[2:3], s19, v0
	v_addc_co_u32_e64 v36, s[2:3], 0, v2, s[2:3]
	global_load_dwordx4 v[35:38], v[35:36], off offset:1008
	v_add_co_u32_e64 v51, s[2:3], s18, v0
	v_addc_co_u32_e64 v52, s[2:3], 0, v2, s[2:3]
	global_load_dwordx4 v[39:42], v[51:52], off offset:16
	global_load_dwordx4 v[43:46], v[51:52], off offset:32
	;; [unrolled: 1-line block ×3, first 2 shown]
	ds_read_b128 v[51:54], v70
	ds_read_b128 v[55:58], v137 offset:5280
	ds_read_b128 v[59:62], v137 offset:7040
	;; [unrolled: 1-line block ×4, first 2 shown]
	ds_read_b128 v[79:82], v137
	ds_read_b128 v[83:86], v137 offset:3520
	ds_read_b128 v[87:90], v137 offset:10560
	;; [unrolled: 1-line block ×9, first 2 shown]
	s_waitcnt vmcnt(0) lgkmcnt(0)
	s_barrier
	v_lshlrev_b32_e32 v0, 4, v64
	v_cmp_ne_u32_e64 s[2:3], 0, v64
	v_mul_f64 v[119:120], v[57:58], v[5:6]
	v_mul_f64 v[5:6], v[55:56], v[5:6]
	;; [unrolled: 1-line block ×4, first 2 shown]
	v_fma_f64 v[55:56], v[55:56], v[3:4], -v[119:120]
	v_fma_f64 v[57:58], v[57:58], v[3:4], v[5:6]
	v_mul_f64 v[4:5], v[73:74], v[13:14]
	v_fma_f64 v[2:3], v[87:88], v[15:16], -v[121:122]
	v_fma_f64 v[16:17], v[89:90], v[15:16], v[17:18]
	v_mul_f64 v[13:14], v[71:72], v[13:14]
	v_mul_f64 v[87:88], v[105:106], v[9:10]
	;; [unrolled: 1-line block ×5, first 2 shown]
	v_fma_f64 v[4:5], v[71:72], v[11:12], -v[4:5]
	v_mul_f64 v[119:120], v[97:98], v[33:34]
	v_fma_f64 v[12:13], v[73:74], v[11:12], v[13:14]
	v_fma_f64 v[14:15], v[103:104], v[7:8], -v[87:88]
	v_fma_f64 v[8:9], v[105:106], v[7:8], v[9:10]
	v_mul_f64 v[6:7], v[77:78], v[29:30]
	v_fma_f64 v[59:60], v[59:60], v[19:20], -v[89:90]
	v_fma_f64 v[61:62], v[61:62], v[19:20], v[21:22]
	v_mul_f64 v[10:11], v[75:76], v[29:30]
	v_mul_f64 v[18:19], v[113:114], v[25:26]
	;; [unrolled: 1-line block ×6, first 2 shown]
	v_fma_f64 v[73:74], v[75:76], v[27:28], -v[6:7]
	v_mul_f64 v[37:38], v[101:102], v[41:42]
	v_add_f64 v[6:7], v[2:3], v[4:5]
	v_fma_f64 v[75:76], v[77:78], v[27:28], v[10:11]
	v_fma_f64 v[77:78], v[113:114], v[23:24], v[20:21]
	v_mul_f64 v[20:21], v[99:100], v[41:42]
	v_fma_f64 v[87:88], v[91:92], v[35:36], -v[25:26]
	v_fma_f64 v[89:90], v[93:94], v[35:36], v[29:30]
	v_mul_f64 v[29:30], v[117:118], v[49:50]
	v_fma_f64 v[91:92], v[99:100], v[39:40], -v[37:38]
	v_add_f64 v[36:37], v[55:56], v[14:15]
	v_fma_f64 v[71:72], v[95:96], v[31:32], -v[119:120]
	v_fma_f64 v[32:33], v[97:98], v[31:32], v[33:34]
	v_fma_f64 v[27:28], v[111:112], v[23:24], -v[18:19]
	v_fma_f64 v[6:7], v[6:7], -0.5, v[79:80]
	v_add_f64 v[18:19], v[57:58], -v[8:9]
	v_mul_f64 v[22:23], v[109:110], v[45:46]
	v_mul_f64 v[24:25], v[107:108], v[45:46]
	;; [unrolled: 1-line block ×3, first 2 shown]
	v_add_f64 v[45:46], v[16:17], -v[12:13]
	v_fma_f64 v[49:50], v[101:102], v[39:40], v[20:21]
	v_fma_f64 v[97:98], v[115:116], v[47:48], -v[29:30]
	v_fma_f64 v[20:21], v[36:37], -0.5, v[79:80]
	v_add_f64 v[29:30], v[81:82], v[57:58]
	v_add_f64 v[10:11], v[79:80], v[55:56]
	v_fma_f64 v[41:42], v[18:19], s[4:5], v[6:7]
	v_fma_f64 v[95:96], v[109:110], v[43:44], v[24:25]
	v_add_f64 v[24:25], v[55:56], -v[2:3]
	v_add_f64 v[36:37], v[14:15], -v[4:5]
	v_fma_f64 v[93:94], v[107:108], v[43:44], -v[22:23]
	v_fma_f64 v[38:39], v[45:46], s[10:11], v[20:21]
	v_fma_f64 v[20:21], v[45:46], s[4:5], v[20:21]
	v_add_f64 v[29:30], v[29:30], v[16:17]
	v_add_f64 v[10:11], v[10:11], v[2:3]
	v_fma_f64 v[99:100], v[117:118], v[47:48], v[34:35]
	v_fma_f64 v[22:23], v[45:46], s[6:7], v[41:42]
	v_add_f64 v[34:35], v[16:17], v[12:13]
	v_fma_f64 v[6:7], v[18:19], s[10:11], v[6:7]
	v_add_f64 v[40:41], v[2:3], -v[55:56]
	v_add_f64 v[42:43], v[4:5], -v[14:15]
	v_add_f64 v[24:25], v[24:25], v[36:37]
	v_fma_f64 v[38:39], v[18:19], s[6:7], v[38:39]
	v_fma_f64 v[18:19], v[18:19], s[14:15], v[20:21]
	v_add_f64 v[20:21], v[29:30], v[12:13]
	v_add_f64 v[29:30], v[57:58], v[8:9]
	;; [unrolled: 1-line block ×3, first 2 shown]
	v_fma_f64 v[34:35], v[34:35], -0.5, v[81:82]
	v_add_f64 v[47:48], v[55:56], -v[14:15]
	v_fma_f64 v[36:37], v[45:46], s[14:15], v[6:7]
	v_add_f64 v[40:41], v[40:41], v[42:43]
	v_add_f64 v[44:45], v[2:3], -v[4:5]
	v_fma_f64 v[6:7], v[24:25], s[16:17], v[22:23]
	v_fma_f64 v[22:23], v[29:30], -0.5, v[81:82]
	v_add_f64 v[2:3], v[10:11], v[14:15]
	v_add_f64 v[4:5], v[20:21], v[8:9]
	v_fma_f64 v[42:43], v[47:48], s[10:11], v[34:35]
	v_fma_f64 v[10:11], v[24:25], s[16:17], v[36:37]
	;; [unrolled: 1-line block ×4, first 2 shown]
	v_add_f64 v[24:25], v[57:58], -v[16:17]
	v_add_f64 v[29:30], v[8:9], -v[12:13]
	v_add_f64 v[36:37], v[51:52], v[59:60]
	v_fma_f64 v[34:35], v[47:48], s[4:5], v[34:35]
	v_add_f64 v[38:39], v[71:72], v[73:74]
	v_fma_f64 v[40:41], v[44:45], s[4:5], v[22:23]
	v_add_f64 v[16:17], v[16:17], -v[57:58]
	v_add_f64 v[8:9], v[12:13], -v[8:9]
	v_fma_f64 v[20:21], v[44:45], s[14:15], v[42:43]
	v_fma_f64 v[12:13], v[44:45], s[10:11], v[22:23]
	v_add_f64 v[22:23], v[24:25], v[29:30]
	v_add_f64 v[24:25], v[36:37], v[71:72]
	v_fma_f64 v[29:30], v[44:45], s[6:7], v[34:35]
	v_fma_f64 v[34:35], v[38:39], -0.5, v[51:52]
	v_fma_f64 v[38:39], v[47:48], s[14:15], v[40:41]
	v_add_f64 v[40:41], v[16:17], v[8:9]
	v_add_f64 v[44:45], v[59:60], v[27:28]
	v_add_f64 v[36:37], v[61:62], -v[77:78]
	v_fma_f64 v[42:43], v[47:48], s[6:7], v[12:13]
	v_add_f64 v[24:25], v[24:25], v[73:74]
	v_add_f64 v[46:47], v[32:33], -v[75:76]
	v_fma_f64 v[8:9], v[22:23], s[16:17], v[20:21]
	v_fma_f64 v[12:13], v[22:23], s[16:17], v[29:30]
	;; [unrolled: 1-line block ×3, first 2 shown]
	v_fma_f64 v[38:39], v[44:45], -0.5, v[51:52]
	v_fma_f64 v[29:30], v[36:37], s[4:5], v[34:35]
	v_fma_f64 v[20:21], v[40:41], s[16:17], v[42:43]
	v_add_f64 v[22:23], v[24:25], v[27:28]
	v_add_f64 v[24:25], v[59:60], -v[71:72]
	v_add_f64 v[40:41], v[27:28], -v[73:74]
	v_fma_f64 v[34:35], v[36:37], s[10:11], v[34:35]
	v_add_f64 v[55:56], v[71:72], -v[59:60]
	v_fma_f64 v[51:52], v[46:47], s[10:11], v[38:39]
	;; [unrolled: 2-line block ×3, first 2 shown]
	v_add_f64 v[42:43], v[53:54], v[61:62]
	v_add_f64 v[44:45], v[32:33], v[75:76]
	;; [unrolled: 1-line block ×3, first 2 shown]
	v_fma_f64 v[34:35], v[46:47], s[14:15], v[34:35]
	v_fma_f64 v[38:39], v[46:47], s[4:5], v[38:39]
	v_fma_f64 v[46:47], v[36:37], s[6:7], v[51:52]
	v_add_f64 v[51:52], v[55:56], v[57:58]
	v_add_f64 v[55:56], v[71:72], -v[73:74]
	v_add_f64 v[40:41], v[42:43], v[32:33]
	v_fma_f64 v[42:43], v[44:45], -0.5, v[53:54]
	v_add_f64 v[44:45], v[59:60], -v[27:28]
	v_fma_f64 v[26:27], v[24:25], s[16:17], v[29:30]
	v_fma_f64 v[30:31], v[24:25], s[16:17], v[34:35]
	;; [unrolled: 1-line block ×3, first 2 shown]
	v_add_f64 v[36:37], v[61:62], v[77:78]
	v_fma_f64 v[34:35], v[51:52], s[16:17], v[46:47]
	v_add_f64 v[46:47], v[91:92], v[93:94]
	v_add_f64 v[28:29], v[40:41], v[75:76]
	v_fma_f64 v[40:41], v[44:45], s[10:11], v[42:43]
	v_add_f64 v[57:58], v[61:62], -v[32:33]
	v_add_f64 v[59:60], v[77:78], -v[75:76]
	v_fma_f64 v[38:39], v[51:52], s[16:17], v[24:25]
	v_fma_f64 v[36:37], v[36:37], -0.5, v[53:54]
	v_add_f64 v[53:54], v[89:90], -v[99:100]
	v_fma_f64 v[51:52], v[46:47], -0.5, v[83:84]
	v_add_f64 v[24:25], v[28:29], v[77:78]
	v_fma_f64 v[28:29], v[55:56], s[14:15], v[40:41]
	v_add_f64 v[40:41], v[83:84], v[87:88]
	v_add_f64 v[46:47], v[57:58], v[59:60]
	v_fma_f64 v[42:43], v[44:45], s[4:5], v[42:43]
	v_fma_f64 v[57:58], v[55:56], s[4:5], v[36:37]
	v_add_f64 v[32:33], v[32:33], -v[61:62]
	v_add_f64 v[59:60], v[75:76], -v[77:78]
	v_fma_f64 v[36:37], v[55:56], s[10:11], v[36:37]
	v_fma_f64 v[61:62], v[53:54], s[4:5], v[51:52]
	v_add_f64 v[71:72], v[49:50], -v[95:96]
	v_add_f64 v[73:74], v[87:88], -v[91:92]
	;; [unrolled: 1-line block ×3, first 2 shown]
	v_add_f64 v[40:41], v[40:41], v[91:92]
	v_fma_f64 v[42:43], v[55:56], s[6:7], v[42:43]
	v_fma_f64 v[57:58], v[44:45], s[14:15], v[57:58]
	v_add_f64 v[59:60], v[32:33], v[59:60]
	v_fma_f64 v[44:45], v[44:45], s[6:7], v[36:37]
	v_fma_f64 v[61:62], v[71:72], s[6:7], v[61:62]
	v_add_f64 v[55:56], v[87:88], v[97:98]
	v_add_f64 v[73:74], v[73:74], v[75:76]
	;; [unrolled: 1-line block ×3, first 2 shown]
	v_fma_f64 v[28:29], v[46:47], s[16:17], v[28:29]
	v_fma_f64 v[32:33], v[46:47], s[16:17], v[42:43]
	;; [unrolled: 1-line block ×4, first 2 shown]
	v_add_f64 v[44:45], v[49:50], v[95:96]
	v_fma_f64 v[55:56], v[55:56], -0.5, v[83:84]
	v_fma_f64 v[46:47], v[73:74], s[16:17], v[61:62]
	v_add_f64 v[61:62], v[89:90], v[99:100]
	v_add_f64 v[42:43], v[77:78], v[97:98]
	v_fma_f64 v[51:52], v[53:54], s[10:11], v[51:52]
	v_add_f64 v[59:60], v[91:92], -v[87:88]
	v_add_f64 v[75:76], v[93:94], -v[97:98]
	v_add_f64 v[77:78], v[85:86], v[89:90]
	v_fma_f64 v[44:45], v[44:45], -0.5, v[85:86]
	v_add_f64 v[79:80], v[87:88], -v[97:98]
	v_add_f64 v[81:82], v[91:92], -v[93:94]
	v_fma_f64 v[61:62], v[61:62], -0.5, v[85:86]
	v_fma_f64 v[57:58], v[71:72], s[10:11], v[55:56]
	v_fma_f64 v[51:52], v[71:72], s[14:15], v[51:52]
	v_add_f64 v[59:60], v[59:60], v[75:76]
	v_fma_f64 v[55:56], v[71:72], s[4:5], v[55:56]
	v_add_f64 v[71:72], v[77:78], v[49:50]
	v_fma_f64 v[75:76], v[79:80], s[10:11], v[44:45]
	v_add_f64 v[77:78], v[89:90], -v[49:50]
	v_add_f64 v[83:84], v[99:100], -v[95:96]
	v_fma_f64 v[44:45], v[79:80], s[4:5], v[44:45]
	v_fma_f64 v[85:86], v[81:82], s[4:5], v[61:62]
	v_add_f64 v[48:49], v[49:50], -v[89:90]
	v_add_f64 v[87:88], v[95:96], -v[99:100]
	v_fma_f64 v[61:62], v[81:82], s[10:11], v[61:62]
	v_fma_f64 v[57:58], v[53:54], s[6:7], v[57:58]
	v_fma_f64 v[89:90], v[53:54], s[14:15], v[55:56]
	v_add_f64 v[71:72], v[71:72], v[95:96]
	v_fma_f64 v[75:76], v[81:82], s[14:15], v[75:76]
	v_add_f64 v[77:78], v[77:78], v[83:84]
	v_fma_f64 v[81:82], v[81:82], s[6:7], v[44:45]
	v_fma_f64 v[83:84], v[79:80], s[14:15], v[85:86]
	v_add_f64 v[85:86], v[48:49], v[87:88]
	v_fma_f64 v[61:62], v[79:80], s[6:7], v[61:62]
	v_fma_f64 v[50:51], v[73:74], s[16:17], v[51:52]
	;; [unrolled: 1-line block ×4, first 2 shown]
	v_add_f64 v[44:45], v[71:72], v[99:100]
	v_fma_f64 v[48:49], v[77:78], s[16:17], v[75:76]
	v_fma_f64 v[52:53], v[77:78], s[16:17], v[81:82]
	;; [unrolled: 1-line block ×4, first 2 shown]
	ds_write_b128 v137, v[2:5]
	ds_write_b128 v137, v[6:9] offset:5280
	ds_write_b128 v137, v[14:17] offset:10560
	;; [unrolled: 1-line block ×4, first 2 shown]
	ds_write_b128 v70, v[22:25]
	ds_write_b128 v70, v[26:29] offset:5280
	ds_write_b128 v70, v[34:37] offset:10560
	;; [unrolled: 1-line block ×9, first 2 shown]
	s_waitcnt lgkmcnt(0)
	s_barrier
	ds_read_b128 v[4:7], v137
	s_add_u32 s6, s8, 0x6670
	s_addc_u32 s7, s9, 0
	v_sub_u32_e32 v12, 0, v0
                                        ; implicit-def: $vgpr2_vgpr3
                                        ; implicit-def: $vgpr8_vgpr9
                                        ; implicit-def: $vgpr10_vgpr11
	s_and_saveexec_b64 s[4:5], s[2:3]
	s_xor_b64 s[4:5], exec, s[4:5]
	s_cbranch_execz .LBB0_21
; %bb.20:
	v_mov_b32_e32 v65, v1
	v_lshlrev_b64 v[0:1], 4, v[64:65]
	v_mov_b32_e32 v2, s7
	v_add_co_u32_e64 v0, s[2:3], s6, v0
	v_addc_co_u32_e64 v1, s[2:3], v2, v1, s[2:3]
	global_load_dwordx4 v[0:3], v[0:1], off
	ds_read_b128 v[8:11], v12 offset:26400
	s_waitcnt lgkmcnt(0)
	v_add_f64 v[13:14], v[4:5], -v[8:9]
	v_add_f64 v[15:16], v[6:7], v[10:11]
	v_add_f64 v[6:7], v[6:7], -v[10:11]
	v_add_f64 v[4:5], v[4:5], v[8:9]
	v_mul_f64 v[10:11], v[13:14], 0.5
	v_mul_f64 v[13:14], v[15:16], 0.5
	;; [unrolled: 1-line block ×3, first 2 shown]
	s_waitcnt vmcnt(0)
	v_mul_f64 v[8:9], v[10:11], v[2:3]
	v_fma_f64 v[15:16], v[13:14], v[2:3], v[6:7]
	v_fma_f64 v[2:3], v[13:14], v[2:3], -v[6:7]
	v_fma_f64 v[17:18], v[4:5], 0.5, v[8:9]
	v_fma_f64 v[4:5], v[4:5], 0.5, -v[8:9]
	v_fma_f64 v[8:9], -v[0:1], v[10:11], v[15:16]
	v_fma_f64 v[2:3], -v[0:1], v[10:11], v[2:3]
	v_mov_b32_e32 v10, v64
	v_mov_b32_e32 v11, v65
	v_fma_f64 v[6:7], v[13:14], v[0:1], v[17:18]
	v_fma_f64 v[0:1], -v[13:14], v[0:1], v[4:5]
                                        ; implicit-def: $vgpr4_vgpr5
	ds_write_b64 v137, v[6:7]
.LBB0_21:
	s_andn2_saveexec_b64 s[2:3], s[4:5]
	s_cbranch_execz .LBB0_23
; %bb.22:
	s_waitcnt lgkmcnt(0)
	v_add_f64 v[2:3], v[4:5], v[6:7]
	v_mov_b32_e32 v15, 0
	ds_read_b64 v[13:14], v15 offset:13208
	v_add_f64 v[0:1], v[4:5], -v[6:7]
	v_mov_b32_e32 v8, 0
	v_mov_b32_e32 v10, 0
	;; [unrolled: 1-line block ×3, first 2 shown]
	s_waitcnt lgkmcnt(0)
	v_xor_b32_e32 v14, 0x80000000, v14
	ds_write_b64 v15, v[13:14] offset:13208
	ds_write_b64 v137, v[2:3]
	v_mov_b32_e32 v2, v8
	v_mov_b32_e32 v11, 0
	;; [unrolled: 1-line block ×3, first 2 shown]
.LBB0_23:
	s_or_b64 exec, exec, s[2:3]
	v_mov_b32_e32 v69, 0
	s_waitcnt lgkmcnt(0)
	v_lshlrev_b64 v[4:5], 4, v[68:69]
	v_mov_b32_e32 v6, s7
	v_add_co_u32_e64 v4, s[2:3], s6, v4
	v_addc_co_u32_e64 v5, s[2:3], v6, v5, s[2:3]
	global_load_dwordx4 v[13:16], v[4:5], off
	v_lshlrev_b64 v[4:5], 4, v[10:11]
	v_mov_b32_e32 v7, s7
	v_add_co_u32_e64 v6, s[2:3], s6, v4
	v_addc_co_u32_e64 v7, s[2:3], v7, v5, s[2:3]
	global_load_dwordx4 v[17:20], v[6:7], off offset:3520
	ds_write_b64 v137, v[8:9] offset:8
	ds_write_b128 v12, v[0:3] offset:26400
	ds_read_b128 v[0:3], v70
	ds_read_b128 v[8:11], v12 offset:24640
	s_movk_i32 s2, 0x1000
	v_add_co_u32_e64 v27, s[2:3], s2, v6
	v_addc_co_u32_e64 v28, s[2:3], 0, v7, s[2:3]
	s_waitcnt lgkmcnt(0)
	v_add_f64 v[21:22], v[0:1], -v[8:9]
	v_add_f64 v[23:24], v[2:3], v[10:11]
	v_add_f64 v[2:3], v[2:3], -v[10:11]
	v_add_f64 v[0:1], v[0:1], v[8:9]
	s_movk_i32 s2, 0x2000
	v_mul_f64 v[10:11], v[21:22], 0.5
	v_mul_f64 v[25:26], v[23:24], 0.5
	;; [unrolled: 1-line block ×3, first 2 shown]
	s_waitcnt vmcnt(1)
	v_mul_f64 v[8:9], v[10:11], v[15:16]
	v_fma_f64 v[21:22], v[25:26], v[15:16], v[2:3]
	v_fma_f64 v[15:16], v[25:26], v[15:16], -v[2:3]
	v_fma_f64 v[23:24], v[0:1], 0.5, v[8:9]
	v_fma_f64 v[8:9], v[0:1], 0.5, -v[8:9]
	v_fma_f64 v[2:3], -v[13:14], v[10:11], v[21:22]
	v_fma_f64 v[10:11], -v[13:14], v[10:11], v[15:16]
	v_fma_f64 v[0:1], v[25:26], v[13:14], v[23:24]
	global_load_dwordx4 v[21:24], v[27:28], off offset:1184
	v_fma_f64 v[8:9], -v[25:26], v[13:14], v[8:9]
	ds_write_b128 v70, v[0:3]
	ds_write_b128 v12, v[8:11] offset:24640
	ds_read_b128 v[0:3], v137 offset:3520
	ds_read_b128 v[8:11], v12 offset:22880
	s_waitcnt lgkmcnt(0)
	v_add_f64 v[13:14], v[0:1], -v[8:9]
	v_add_f64 v[15:16], v[2:3], v[10:11]
	v_add_f64 v[2:3], v[2:3], -v[10:11]
	v_add_f64 v[0:1], v[0:1], v[8:9]
	v_mul_f64 v[13:14], v[13:14], 0.5
	v_mul_f64 v[25:26], v[15:16], 0.5
	;; [unrolled: 1-line block ×3, first 2 shown]
	s_waitcnt vmcnt(1)
	v_mul_f64 v[8:9], v[13:14], v[19:20]
	v_fma_f64 v[10:11], v[25:26], v[19:20], v[2:3]
	v_fma_f64 v[15:16], v[25:26], v[19:20], -v[2:3]
	v_fma_f64 v[19:20], v[0:1], 0.5, v[8:9]
	v_fma_f64 v[29:30], v[0:1], 0.5, -v[8:9]
	global_load_dwordx4 v[0:3], v[27:28], off offset:2944
	v_fma_f64 v[10:11], -v[17:18], v[13:14], v[10:11]
	v_fma_f64 v[15:16], -v[17:18], v[13:14], v[15:16]
	v_add_co_u32_e64 v27, s[2:3], s2, v6
	v_addc_co_u32_e64 v28, s[2:3], 0, v7, s[2:3]
	v_fma_f64 v[8:9], v[25:26], v[17:18], v[19:20]
	v_fma_f64 v[13:14], -v[25:26], v[17:18], v[29:30]
	ds_write_b128 v137, v[8:11] offset:3520
	ds_write_b128 v12, v[13:16] offset:22880
	ds_read_b128 v[8:11], v137 offset:5280
	ds_read_b128 v[13:16], v12 offset:21120
	s_waitcnt lgkmcnt(0)
	v_add_f64 v[17:18], v[8:9], -v[13:14]
	v_add_f64 v[19:20], v[10:11], v[15:16]
	v_add_f64 v[10:11], v[10:11], -v[15:16]
	v_add_f64 v[8:9], v[8:9], v[13:14]
	v_mul_f64 v[15:16], v[17:18], 0.5
	v_mul_f64 v[25:26], v[19:20], 0.5
	;; [unrolled: 1-line block ×3, first 2 shown]
	s_waitcnt vmcnt(1)
	v_mul_f64 v[13:14], v[15:16], v[23:24]
	v_fma_f64 v[17:18], v[25:26], v[23:24], v[10:11]
	v_fma_f64 v[19:20], v[25:26], v[23:24], -v[10:11]
	v_fma_f64 v[23:24], v[8:9], 0.5, v[13:14]
	v_fma_f64 v[13:14], v[8:9], 0.5, -v[13:14]
	v_fma_f64 v[10:11], -v[21:22], v[15:16], v[17:18]
	v_fma_f64 v[15:16], -v[21:22], v[15:16], v[19:20]
	global_load_dwordx4 v[17:20], v[27:28], off offset:608
	v_fma_f64 v[8:9], v[25:26], v[21:22], v[23:24]
	v_fma_f64 v[13:14], -v[25:26], v[21:22], v[13:14]
	ds_write_b128 v137, v[8:11] offset:5280
	ds_write_b128 v12, v[13:16] offset:21120
	ds_read_b128 v[8:11], v137 offset:7040
	ds_read_b128 v[13:16], v12 offset:19360
	s_waitcnt lgkmcnt(0)
	v_add_f64 v[21:22], v[8:9], -v[13:14]
	v_add_f64 v[23:24], v[10:11], v[15:16]
	v_add_f64 v[10:11], v[10:11], -v[15:16]
	v_add_f64 v[8:9], v[8:9], v[13:14]
	v_mul_f64 v[21:22], v[21:22], 0.5
	v_mul_f64 v[23:24], v[23:24], 0.5
	;; [unrolled: 1-line block ×3, first 2 shown]
	s_waitcnt vmcnt(1)
	v_mul_f64 v[13:14], v[21:22], v[2:3]
	v_fma_f64 v[15:16], v[23:24], v[2:3], v[10:11]
	v_fma_f64 v[2:3], v[23:24], v[2:3], -v[10:11]
	v_fma_f64 v[25:26], v[8:9], 0.5, v[13:14]
	v_fma_f64 v[29:30], v[8:9], 0.5, -v[13:14]
	global_load_dwordx4 v[8:11], v[27:28], off offset:2368
	v_fma_f64 v[15:16], -v[0:1], v[21:22], v[15:16]
	v_fma_f64 v[2:3], -v[0:1], v[21:22], v[2:3]
	v_fma_f64 v[13:14], v[23:24], v[0:1], v[25:26]
	v_fma_f64 v[0:1], -v[23:24], v[0:1], v[29:30]
	ds_write_b128 v137, v[13:16] offset:7040
	ds_write_b128 v12, v[0:3] offset:19360
	ds_read_b128 v[0:3], v137 offset:8800
	ds_read_b128 v[13:16], v12 offset:17600
	s_waitcnt lgkmcnt(0)
	v_add_f64 v[21:22], v[0:1], -v[13:14]
	v_add_f64 v[23:24], v[2:3], v[15:16]
	v_add_f64 v[2:3], v[2:3], -v[15:16]
	v_add_f64 v[0:1], v[0:1], v[13:14]
	v_mul_f64 v[15:16], v[21:22], 0.5
	v_mul_f64 v[21:22], v[23:24], 0.5
	;; [unrolled: 1-line block ×3, first 2 shown]
	s_waitcnt vmcnt(1)
	v_mul_f64 v[13:14], v[15:16], v[19:20]
	v_fma_f64 v[23:24], v[21:22], v[19:20], v[2:3]
	v_fma_f64 v[19:20], v[21:22], v[19:20], -v[2:3]
	v_fma_f64 v[25:26], v[0:1], 0.5, v[13:14]
	v_fma_f64 v[13:14], v[0:1], 0.5, -v[13:14]
	v_fma_f64 v[2:3], -v[17:18], v[15:16], v[23:24]
	v_fma_f64 v[15:16], -v[17:18], v[15:16], v[19:20]
	v_fma_f64 v[0:1], v[21:22], v[17:18], v[25:26]
	v_fma_f64 v[13:14], -v[21:22], v[17:18], v[13:14]
	ds_write_b128 v137, v[0:3] offset:8800
	ds_write_b128 v12, v[13:16] offset:17600
	ds_read_b128 v[0:3], v137 offset:10560
	ds_read_b128 v[13:16], v12 offset:15840
	s_waitcnt lgkmcnt(0)
	v_add_f64 v[17:18], v[0:1], -v[13:14]
	v_add_f64 v[19:20], v[2:3], v[15:16]
	v_add_f64 v[2:3], v[2:3], -v[15:16]
	v_add_f64 v[0:1], v[0:1], v[13:14]
	v_mul_f64 v[15:16], v[17:18], 0.5
	v_mul_f64 v[17:18], v[19:20], 0.5
	;; [unrolled: 1-line block ×3, first 2 shown]
	s_waitcnt vmcnt(0)
	v_mul_f64 v[13:14], v[15:16], v[10:11]
	v_fma_f64 v[19:20], v[17:18], v[10:11], v[2:3]
	v_fma_f64 v[10:11], v[17:18], v[10:11], -v[2:3]
	v_fma_f64 v[21:22], v[0:1], 0.5, v[13:14]
	v_fma_f64 v[13:14], v[0:1], 0.5, -v[13:14]
	v_fma_f64 v[2:3], -v[8:9], v[15:16], v[19:20]
	v_fma_f64 v[10:11], -v[8:9], v[15:16], v[10:11]
	v_fma_f64 v[0:1], v[17:18], v[8:9], v[21:22]
	v_fma_f64 v[8:9], -v[17:18], v[8:9], v[13:14]
	ds_write_b128 v137, v[0:3] offset:10560
	ds_write_b128 v12, v[8:11] offset:15840
	s_and_saveexec_b64 s[2:3], vcc
	s_cbranch_execz .LBB0_25
; %bb.24:
	s_movk_i32 s4, 0x3000
	v_add_co_u32_e32 v0, vcc, s4, v6
	v_addc_co_u32_e32 v1, vcc, 0, v7, vcc
	global_load_dwordx4 v[0:3], v[0:1], off offset:32
	ds_read_b128 v[6:9], v137 offset:12320
	ds_read_b128 v[13:16], v12 offset:14080
	s_waitcnt lgkmcnt(0)
	v_add_f64 v[10:11], v[6:7], -v[13:14]
	v_add_f64 v[17:18], v[8:9], v[15:16]
	v_add_f64 v[8:9], v[8:9], -v[15:16]
	v_add_f64 v[6:7], v[6:7], v[13:14]
	v_mul_f64 v[10:11], v[10:11], 0.5
	v_mul_f64 v[15:16], v[17:18], 0.5
	;; [unrolled: 1-line block ×3, first 2 shown]
	s_waitcnt vmcnt(0)
	v_mul_f64 v[13:14], v[10:11], v[2:3]
	v_fma_f64 v[17:18], v[15:16], v[2:3], v[8:9]
	v_fma_f64 v[2:3], v[15:16], v[2:3], -v[8:9]
	v_fma_f64 v[19:20], v[6:7], 0.5, v[13:14]
	v_fma_f64 v[13:14], v[6:7], 0.5, -v[13:14]
	v_fma_f64 v[8:9], -v[0:1], v[10:11], v[17:18]
	v_fma_f64 v[2:3], -v[0:1], v[10:11], v[2:3]
	v_fma_f64 v[6:7], v[15:16], v[0:1], v[19:20]
	v_fma_f64 v[0:1], -v[15:16], v[0:1], v[13:14]
	ds_write_b128 v137, v[6:9] offset:12320
	ds_write_b128 v12, v[0:3] offset:14080
.LBB0_25:
	s_or_b64 exec, exec, s[2:3]
	s_waitcnt lgkmcnt(0)
	s_barrier
	s_and_saveexec_b64 s[2:3], s[0:1]
	s_cbranch_execz .LBB0_28
; %bb.26:
	v_mov_b32_e32 v0, s13
	v_add_co_u32_e32 v1, vcc, s12, v66
	ds_read_b128 v[6:9], v137
	ds_read_b128 v[10:13], v137 offset:1760
	ds_read_b128 v[14:17], v137 offset:3520
	v_addc_co_u32_e32 v0, vcc, v0, v67, vcc
	v_add_co_u32_e32 v18, vcc, v1, v4
	v_addc_co_u32_e32 v19, vcc, v0, v5, vcc
	s_waitcnt lgkmcnt(2)
	global_store_dwordx4 v[18:19], v[6:9], off
	s_waitcnt lgkmcnt(1)
	global_store_dwordx4 v[18:19], v[10:13], off offset:1760
	ds_read_b128 v[2:5], v137 offset:5280
	ds_read_b128 v[6:9], v137 offset:7040
	v_add_co_u32_e32 v10, vcc, 0x1000, v18
	v_addc_co_u32_e32 v11, vcc, 0, v19, vcc
	s_waitcnt lgkmcnt(1)
	global_store_dwordx4 v[10:11], v[2:5], off offset:1184
	ds_read_b128 v[2:5], v137 offset:8800
	s_waitcnt lgkmcnt(1)
	global_store_dwordx4 v[10:11], v[6:9], off offset:2944
	ds_read_b128 v[6:9], v137 offset:10560
	v_add_co_u32_e32 v10, vcc, 0x2000, v18
	v_addc_co_u32_e32 v11, vcc, 0, v19, vcc
	global_store_dwordx4 v[18:19], v[14:17], off offset:3520
	s_waitcnt lgkmcnt(1)
	global_store_dwordx4 v[10:11], v[2:5], off offset:608
	s_waitcnt lgkmcnt(0)
	global_store_dwordx4 v[10:11], v[6:9], off offset:2368
	ds_read_b128 v[2:5], v137 offset:12320
	ds_read_b128 v[6:9], v137 offset:14080
	;; [unrolled: 1-line block ×3, first 2 shown]
	v_add_co_u32_e32 v14, vcc, 0x3000, v18
	v_addc_co_u32_e32 v15, vcc, 0, v19, vcc
	s_waitcnt lgkmcnt(2)
	global_store_dwordx4 v[14:15], v[2:5], off offset:32
	s_waitcnt lgkmcnt(1)
	global_store_dwordx4 v[14:15], v[6:9], off offset:1792
	;; [unrolled: 2-line block ×3, first 2 shown]
	ds_read_b128 v[2:5], v137 offset:17600
	ds_read_b128 v[6:9], v137 offset:19360
	v_add_co_u32_e32 v10, vcc, 0x4000, v18
	v_addc_co_u32_e32 v11, vcc, 0, v19, vcc
	s_waitcnt lgkmcnt(1)
	global_store_dwordx4 v[10:11], v[2:5], off offset:1216
	s_waitcnt lgkmcnt(0)
	global_store_dwordx4 v[10:11], v[6:9], off offset:2976
	ds_read_b128 v[2:5], v137 offset:21120
	ds_read_b128 v[6:9], v137 offset:22880
	v_add_co_u32_e32 v10, vcc, 0x5000, v18
	v_addc_co_u32_e32 v11, vcc, 0, v19, vcc
	s_waitcnt lgkmcnt(1)
	global_store_dwordx4 v[10:11], v[2:5], off offset:640
	s_waitcnt lgkmcnt(0)
	global_store_dwordx4 v[10:11], v[6:9], off offset:2400
	ds_read_b128 v[2:5], v137 offset:24640
	v_add_co_u32_e32 v6, vcc, 0x6000, v18
	v_addc_co_u32_e32 v7, vcc, 0, v19, vcc
	s_movk_i32 s0, 0x6d
	v_cmp_eq_u32_e32 vcc, s0, v64
	s_waitcnt lgkmcnt(0)
	global_store_dwordx4 v[6:7], v[2:5], off offset:64
	s_and_b64 exec, exec, vcc
	s_cbranch_execz .LBB0_28
; %bb.27:
	v_mov_b32_e32 v2, 0
	ds_read_b128 v[2:5], v2 offset:26400
	v_add_co_u32_e32 v6, vcc, 0x6000, v1
	v_addc_co_u32_e32 v7, vcc, 0, v0, vcc
	s_waitcnt lgkmcnt(0)
	global_store_dwordx4 v[6:7], v[2:5], off offset:1824
.LBB0_28:
	s_endpgm
	.section	.rodata,"a",@progbits
	.p2align	6, 0x0
	.amdhsa_kernel fft_rtc_fwd_len1650_factors_11_2_3_5_5_wgs_110_tpt_110_halfLds_dp_ip_CI_unitstride_sbrr_R2C_dirReg
		.amdhsa_group_segment_fixed_size 0
		.amdhsa_private_segment_fixed_size 0
		.amdhsa_kernarg_size 88
		.amdhsa_user_sgpr_count 6
		.amdhsa_user_sgpr_private_segment_buffer 1
		.amdhsa_user_sgpr_dispatch_ptr 0
		.amdhsa_user_sgpr_queue_ptr 0
		.amdhsa_user_sgpr_kernarg_segment_ptr 1
		.amdhsa_user_sgpr_dispatch_id 0
		.amdhsa_user_sgpr_flat_scratch_init 0
		.amdhsa_user_sgpr_private_segment_size 0
		.amdhsa_uses_dynamic_stack 0
		.amdhsa_system_sgpr_private_segment_wavefront_offset 0
		.amdhsa_system_sgpr_workgroup_id_x 1
		.amdhsa_system_sgpr_workgroup_id_y 0
		.amdhsa_system_sgpr_workgroup_id_z 0
		.amdhsa_system_sgpr_workgroup_info 0
		.amdhsa_system_vgpr_workitem_id 0
		.amdhsa_next_free_vgpr 206
		.amdhsa_next_free_sgpr 40
		.amdhsa_reserve_vcc 1
		.amdhsa_reserve_flat_scratch 0
		.amdhsa_float_round_mode_32 0
		.amdhsa_float_round_mode_16_64 0
		.amdhsa_float_denorm_mode_32 3
		.amdhsa_float_denorm_mode_16_64 3
		.amdhsa_dx10_clamp 1
		.amdhsa_ieee_mode 1
		.amdhsa_fp16_overflow 0
		.amdhsa_exception_fp_ieee_invalid_op 0
		.amdhsa_exception_fp_denorm_src 0
		.amdhsa_exception_fp_ieee_div_zero 0
		.amdhsa_exception_fp_ieee_overflow 0
		.amdhsa_exception_fp_ieee_underflow 0
		.amdhsa_exception_fp_ieee_inexact 0
		.amdhsa_exception_int_div_zero 0
	.end_amdhsa_kernel
	.text
.Lfunc_end0:
	.size	fft_rtc_fwd_len1650_factors_11_2_3_5_5_wgs_110_tpt_110_halfLds_dp_ip_CI_unitstride_sbrr_R2C_dirReg, .Lfunc_end0-fft_rtc_fwd_len1650_factors_11_2_3_5_5_wgs_110_tpt_110_halfLds_dp_ip_CI_unitstride_sbrr_R2C_dirReg
                                        ; -- End function
	.section	.AMDGPU.csdata,"",@progbits
; Kernel info:
; codeLenInByte = 16708
; NumSgprs: 44
; NumVgprs: 206
; ScratchSize: 0
; MemoryBound: 0
; FloatMode: 240
; IeeeMode: 1
; LDSByteSize: 0 bytes/workgroup (compile time only)
; SGPRBlocks: 5
; VGPRBlocks: 51
; NumSGPRsForWavesPerEU: 44
; NumVGPRsForWavesPerEU: 206
; Occupancy: 1
; WaveLimiterHint : 1
; COMPUTE_PGM_RSRC2:SCRATCH_EN: 0
; COMPUTE_PGM_RSRC2:USER_SGPR: 6
; COMPUTE_PGM_RSRC2:TRAP_HANDLER: 0
; COMPUTE_PGM_RSRC2:TGID_X_EN: 1
; COMPUTE_PGM_RSRC2:TGID_Y_EN: 0
; COMPUTE_PGM_RSRC2:TGID_Z_EN: 0
; COMPUTE_PGM_RSRC2:TIDIG_COMP_CNT: 0
	.type	__hip_cuid_1b68d53bad4639bb,@object ; @__hip_cuid_1b68d53bad4639bb
	.section	.bss,"aw",@nobits
	.globl	__hip_cuid_1b68d53bad4639bb
__hip_cuid_1b68d53bad4639bb:
	.byte	0                               ; 0x0
	.size	__hip_cuid_1b68d53bad4639bb, 1

	.ident	"AMD clang version 19.0.0git (https://github.com/RadeonOpenCompute/llvm-project roc-6.4.0 25133 c7fe45cf4b819c5991fe208aaa96edf142730f1d)"
	.section	".note.GNU-stack","",@progbits
	.addrsig
	.addrsig_sym __hip_cuid_1b68d53bad4639bb
	.amdgpu_metadata
---
amdhsa.kernels:
  - .args:
      - .actual_access:  read_only
        .address_space:  global
        .offset:         0
        .size:           8
        .value_kind:     global_buffer
      - .offset:         8
        .size:           8
        .value_kind:     by_value
      - .actual_access:  read_only
        .address_space:  global
        .offset:         16
        .size:           8
        .value_kind:     global_buffer
      - .actual_access:  read_only
        .address_space:  global
        .offset:         24
        .size:           8
        .value_kind:     global_buffer
      - .offset:         32
        .size:           8
        .value_kind:     by_value
      - .actual_access:  read_only
        .address_space:  global
        .offset:         40
        .size:           8
        .value_kind:     global_buffer
      - .actual_access:  read_only
        .address_space:  global
        .offset:         48
        .size:           8
        .value_kind:     global_buffer
      - .offset:         56
        .size:           4
        .value_kind:     by_value
      - .actual_access:  read_only
        .address_space:  global
        .offset:         64
        .size:           8
        .value_kind:     global_buffer
      - .actual_access:  read_only
        .address_space:  global
        .offset:         72
        .size:           8
        .value_kind:     global_buffer
      - .address_space:  global
        .offset:         80
        .size:           8
        .value_kind:     global_buffer
    .group_segment_fixed_size: 0
    .kernarg_segment_align: 8
    .kernarg_segment_size: 88
    .language:       OpenCL C
    .language_version:
      - 2
      - 0
    .max_flat_workgroup_size: 110
    .name:           fft_rtc_fwd_len1650_factors_11_2_3_5_5_wgs_110_tpt_110_halfLds_dp_ip_CI_unitstride_sbrr_R2C_dirReg
    .private_segment_fixed_size: 0
    .sgpr_count:     44
    .sgpr_spill_count: 0
    .symbol:         fft_rtc_fwd_len1650_factors_11_2_3_5_5_wgs_110_tpt_110_halfLds_dp_ip_CI_unitstride_sbrr_R2C_dirReg.kd
    .uniform_work_group_size: 1
    .uses_dynamic_stack: false
    .vgpr_count:     206
    .vgpr_spill_count: 0
    .wavefront_size: 64
amdhsa.target:   amdgcn-amd-amdhsa--gfx906
amdhsa.version:
  - 1
  - 2
...

	.end_amdgpu_metadata
